;; amdgpu-corpus repo=ROCm/aiter kind=harvested arch=n/a opt=n/a

/root/src/amdgpu-assembly/repos/ROCm__aiter/hsa/gfx942/fmoe_2stages/fmoe_stage1_bf16_pertokenFp8_g1u1_144x128_pf2.co:	file format elf64-amdgpu

Disassembly of section .text:

0000000000002a00 <_ZN5aiter45fmoe_stage1_bf16_pertokenFp8_g1u1_144x128_pf2E>:
	s_and_b32 s1, s1, 0xffff                                   // 000000002A00: 8601FF01 0000FFFF
	s_load_dwordx2 s[8:9], s[0:1], 0x0                         // 000000002A08: C0060200 00000000
	s_load_dwordx2 s[20:21], s[0:1], 0x10                      // 000000002A10: C0060500 00000010
	s_load_dwordx2 s[24:25], s[0:1], 0x20                      // 000000002A18: C0060600 00000020
	s_load_dwordx2 s[48:49], s[0:1], 0x30                      // 000000002A20: C0060C00 00000030
	s_load_dwordx2 s[28:29], s[0:1], 0x40                      // 000000002A28: C0060700 00000040
	s_load_dwordx2 s[32:33], s[0:1], 0x50                      // 000000002A30: C0060800 00000050
	s_load_dwordx2 s[36:37], s[0:1], 0x60                      // 000000002A38: C0060900 00000060
	s_load_dwordx2 s[12:13], s[0:1], 0x70                      // 000000002A40: C0060300 00000070
	s_load_dwordx2 s[44:45], s[0:1], 0x80                      // 000000002A48: C0060B00 00000080
	s_mov_b32 s89, 0                                           // 000000002A50: BED90080
	s_load_dword s64, s[0:1], 0x90                             // 000000002A54: C0021000 00000090
	s_load_dword s65, s[0:1], 0xa0                             // 000000002A5C: C0021040 000000A0
	s_load_dword s66, s[0:1], 0xb0                             // 000000002A64: C0021080 000000B0
	s_load_dword s67, s[0:1], 0xc0                             // 000000002A6C: C00210C0 000000C0
	s_load_dword s68, s[0:1], 0xd0                             // 000000002A74: C0021100 000000D0
	s_load_dword s69, s[0:1], 0xe0                             // 000000002A7C: C0021140 000000E0
	s_load_dword s71, s[0:1], 0xf0                             // 000000002A84: C00211C0 000000F0
	s_load_dword s72, s[0:1], 0x100                            // 000000002A8C: C0021200 00000100
	s_load_dword s74, s[0:1], 0x110                            // 000000002A94: C0021280 00000110
	s_load_dword s76, s[0:1], 0x120                            // 000000002A9C: C0021300 00000120
	s_load_dword s56, s[0:1], 0x130                            // 000000002AA4: C0020E00 00000130
	s_load_dword s88, s[0:1], 0x140                            // 000000002AAC: C0021600 00000140
	s_load_dword s89, s[0:1], 0x150                            // 000000002AB4: C0021640 00000150
	v_lshrrev_b32_e32 v1, 10, v0                               // 000000002ABC: 2002008A
	v_lshrrev_b32_e32 v2, 10, v1                               // 000000002AC0: 2004028A
	v_and_b32_e32 v2, 0x3ff, v2                                // 000000002AC4: 260404FF 000003FF
	v_and_b32_e32 v1, 0x3ff, v1                                // 000000002ACC: 260202FF 000003FF
	v_and_b32_e32 v0, 0x3ff, v0                                // 000000002AD4: 260000FF 000003FF
	v_lshrrev_b32_e32 v3, 6, v0                                // 000000002ADC: 20060086
	v_and_b32_e32 v0, 63, v0                                   // 000000002AE0: 260000BF
	s_mov_b32 s2, s2                                           // 000000002AE4: BE820002
	s_mov_b32 s3, s3                                           // 000000002AE8: BE830003
	s_mov_b32 s4, s4                                           // 000000002AEC: BE840004
	v_readfirstlane_b32 s7, v3                                 // 000000002AF0: 7E0E0503
	s_waitcnt lgkmcnt(0)                                       // 000000002AF4: BF8CC07F
	s_and_b32 s49, s49, 0xffff                                 // 000000002AF8: 8631FF31 0000FFFF
	s_load_dword s48, s[48:49], 0x0                            // 000000002B00: C0020C18 00000000
	s_and_b32 s45, s45, 0xffff                                 // 000000002B08: 862DFF2D 0000FFFF
	s_and_b32 s9, s9, 0xffff                                   // 000000002B10: 8609FF09 0000FFFF
	s_mul_i32 s60, s66, s68                                    // 000000002B18: 923C4442
	s_mul_i32 s61, s66, 4                                      // 000000002B1C: 923D8442
	s_mov_b32 s22, s60                                         // 000000002B20: BE96003C
	s_mov_b32 s26, -16                                         // 000000002B24: BE9A00D0
	s_mov_b32 s30, s61                                         // 000000002B28: BE9E003D
	s_mov_b32 s14, 0x240                                       // 000000002B2C: BE8E00FF 00000240
	s_mov_b32 s38, -16                                         // 000000002B34: BEA600D0
	s_mov_b32 s10, -16                                         // 000000002B38: BE8A00D0
	s_mov_b32 s34, 0x200                                       // 000000002B3C: BEA200FF 00000200
	s_mov_b32 s23, 0x20000                                     // 000000002B44: BE9700FF 00020000
	s_mov_b32 s27, 0x20000                                     // 000000002B4C: BE9B00FF 00020000
	s_mov_b32 s31, 0x20000                                     // 000000002B54: BE9F00FF 00020000
	s_mov_b32 s35, 0x20000                                     // 000000002B5C: BEA300FF 00020000
	s_mov_b32 s15, 0x20000                                     // 000000002B64: BE8F00FF 00020000
	s_mov_b32 s39, 0x20000                                     // 000000002B6C: BEA700FF 00020000
	s_mov_b32 s11, 0x20000                                     // 000000002B74: BE8B00FF 00020000
	s_and_b32 s21, s21, 0xffff                                 // 000000002B7C: 8615FF15 0000FFFF
	s_and_b32 s25, s25, 0xffff                                 // 000000002B84: 8619FF19 0000FFFF
	s_and_b32 s29, s29, 0xffff                                 // 000000002B8C: 861DFF1D 0000FFFF
	s_and_b32 s33, s33, 0xffff                                 // 000000002B94: 8621FF21 0000FFFF
	s_and_b32 s13, s13, 0xffff                                 // 000000002B9C: 860DFF0D 0000FFFF
	s_and_b32 s37, s37, 0xffff                                 // 000000002BA4: 8625FF25 0000FFFF
	s_or_b32 s21, s21, 0x40000                                 // 000000002BAC: 8715FF15 00040000
	s_or_b32 s25, s25, 0x40000                                 // 000000002BB4: 8719FF19 00040000
	s_or_b32 s29, s29, 0x40000                                 // 000000002BBC: 871DFF1D 00040000
	s_or_b32 s33, s33, 0x40000                                 // 000000002BC4: 8721FF21 00040000
	s_or_b32 s13, s13, 0x40000                                 // 000000002BCC: 870DFF0D 00040000
	s_or_b32 s37, s37, 0x40000                                 // 000000002BD4: 8725FF25 00040000
	v_accvgpr_write_b32 a175, 0                                // 000000002BDC: D3D940AF 18000080
	v_mov_b32_e32 v227, 0                                      // 000000002BE4: 7FC60280
	s_waitcnt lgkmcnt(0)                                       // 000000002BE8: BF8CC07F
	s_mul_i32 s60, s3, 0x90                                    // 000000002BEC: 923CFF03 00000090
	s_cmp_lt_i32 s60, s48                                      // 000000002BF4: BF04303C
	s_cbranch_scc0 label_3556                                  // 000000002BF8: BF8434D4
	s_mov_b32 s80, 0                                           // 000000002BFC: BED00080
	s_lshr_b32 s81, s64, s88                                   // 000000002C00: 8F515840
	s_mul_i32 s60, s3, 4                                       // 000000002C04: 923C8403
	s_add_u32 s44, s60, s44                                    // 000000002C08: 802C2C3C
	s_addc_u32 s45, 0, s45                                     // 000000002C0C: 822D2D80
	s_load_dword s5, s[44:45], 0x0                             // 000000002C10: C0020156 00000000
	s_mul_i32 s60, s3, 0x90                                    // 000000002C18: 923CFF03 00000090
	s_mul_i32 s60, 4, s60                                      // 000000002C20: 923C3C84
	s_add_u32 s12, s60, s12                                    // 000000002C24: 800C0C3C
	s_addc_u32 s13, 0, s13                                     // 000000002C28: 820D0D80
	v_and_b32_e32 v4, 15, v0                                   // 000000002C2C: 2608008F
	v_lshlrev_b32_e32 v4, 2, v4                                // 000000002C30: 24080882
	buffer_load_dword v28, v4, s[12:15], 0 offen               // 000000002C34: E0501000 80031C04
	v_add_u32_e32 v4, 64, v4                                   // 000000002C3C: 680808C0
	buffer_load_dword v29, v4, s[12:15], 0 offen               // 000000002C40: E0501000 80031D04
	v_add_u32_e32 v4, 64, v4                                   // 000000002C48: 680808C0
	buffer_load_dword v30, v4, s[12:15], 0 offen               // 000000002C4C: E0501000 80031E04
	v_add_u32_e32 v4, 64, v4                                   // 000000002C54: 680808C0
	buffer_load_dword v31, v4, s[12:15], 0 offen               // 000000002C58: E0501000 80031F04
	v_add_u32_e32 v4, 64, v4                                   // 000000002C60: 680808C0
	buffer_load_dword v32, v4, s[12:15], 0 offen               // 000000002C64: E0501000 80032004
	v_add_u32_e32 v4, 64, v4                                   // 000000002C6C: 680808C0
	buffer_load_dword v33, v4, s[12:15], 0 offen               // 000000002C70: E0501000 80032104
	v_add_u32_e32 v4, 64, v4                                   // 000000002C78: 680808C0
	buffer_load_dword v34, v4, s[12:15], 0 offen               // 000000002C7C: E0501000 80032204
	v_add_u32_e32 v4, 64, v4                                   // 000000002C84: 680808C0
	buffer_load_dword v35, v4, s[12:15], 0 offen               // 000000002C88: E0501000 80032304
	v_add_u32_e32 v4, 64, v4                                   // 000000002C90: 680808C0
	buffer_load_dword v36, v4, s[12:15], 0 offen               // 000000002C94: E0501000 80032404
	v_add_u32_e32 v4, 64, v4                                   // 000000002C9C: 680808C0
	s_mul_i32 s60, 4, s7                                       // 000000002CA0: 923C0784
	v_lshlrev_b32_e32 v4, 4, v0                                // 000000002CA4: 24080084
	v_add_u32_e32 v4, s60, v4                                  // 000000002CA8: 6808083C
	buffer_load_dword v3, v4, s[12:15], 0 offen                // 000000002CAC: E0501000 80030304
	v_mov_b32_e32 v84, 0                                       // 000000002CB4: 7EA80280
	v_mov_b32_e32 v156, 0                                      // 000000002CB8: 7F380280
	v_mov_b32_e32 v85, 0                                       // 000000002CBC: 7EAA0280
	v_mov_b32_e32 v157, 0                                      // 000000002CC0: 7F3A0280
	v_mov_b32_e32 v86, 0                                       // 000000002CC4: 7EAC0280
	v_mov_b32_e32 v158, 0                                      // 000000002CC8: 7F3C0280
	v_mov_b32_e32 v87, 0                                       // 000000002CCC: 7EAE0280
	v_mov_b32_e32 v159, 0                                      // 000000002CD0: 7F3E0280
	v_mov_b32_e32 v88, 0                                       // 000000002CD4: 7EB00280
	v_mov_b32_e32 v160, 0                                      // 000000002CD8: 7F400280
	v_mov_b32_e32 v89, 0                                       // 000000002CDC: 7EB20280
	v_mov_b32_e32 v161, 0                                      // 000000002CE0: 7F420280
	v_mov_b32_e32 v90, 0                                       // 000000002CE4: 7EB40280
	v_mov_b32_e32 v162, 0                                      // 000000002CE8: 7F440280
	v_mov_b32_e32 v91, 0                                       // 000000002CEC: 7EB60280
	v_mov_b32_e32 v163, 0                                      // 000000002CF0: 7F460280
	v_mov_b32_e32 v92, 0                                       // 000000002CF4: 7EB80280
	v_mov_b32_e32 v164, 0                                      // 000000002CF8: 7F480280
	v_mov_b32_e32 v93, 0                                       // 000000002CFC: 7EBA0280
	v_mov_b32_e32 v165, 0                                      // 000000002D00: 7F4A0280
	v_mov_b32_e32 v94, 0                                       // 000000002D04: 7EBC0280
	v_mov_b32_e32 v166, 0                                      // 000000002D08: 7F4C0280
	v_mov_b32_e32 v95, 0                                       // 000000002D0C: 7EBE0280
	v_mov_b32_e32 v167, 0                                      // 000000002D10: 7F4E0280
	v_mov_b32_e32 v96, 0                                       // 000000002D14: 7EC00280
	v_mov_b32_e32 v168, 0                                      // 000000002D18: 7F500280
	v_mov_b32_e32 v97, 0                                       // 000000002D1C: 7EC20280
	v_mov_b32_e32 v169, 0                                      // 000000002D20: 7F520280
	v_mov_b32_e32 v98, 0                                       // 000000002D24: 7EC40280
	v_mov_b32_e32 v170, 0                                      // 000000002D28: 7F540280
	v_mov_b32_e32 v99, 0                                       // 000000002D2C: 7EC60280
	v_mov_b32_e32 v171, 0                                      // 000000002D30: 7F560280
	v_mov_b32_e32 v100, 0                                      // 000000002D34: 7EC80280
	v_mov_b32_e32 v172, 0                                      // 000000002D38: 7F580280
	v_mov_b32_e32 v101, 0                                      // 000000002D3C: 7ECA0280
	v_mov_b32_e32 v173, 0                                      // 000000002D40: 7F5A0280
	v_mov_b32_e32 v102, 0                                      // 000000002D44: 7ECC0280
	v_mov_b32_e32 v174, 0                                      // 000000002D48: 7F5C0280
	v_mov_b32_e32 v103, 0                                      // 000000002D4C: 7ECE0280
	v_mov_b32_e32 v175, 0                                      // 000000002D50: 7F5E0280
	v_mov_b32_e32 v104, 0                                      // 000000002D54: 7ED00280
	v_mov_b32_e32 v176, 0                                      // 000000002D58: 7F600280
	v_mov_b32_e32 v105, 0                                      // 000000002D5C: 7ED20280
	v_mov_b32_e32 v177, 0                                      // 000000002D60: 7F620280
	v_mov_b32_e32 v106, 0                                      // 000000002D64: 7ED40280
	v_mov_b32_e32 v178, 0                                      // 000000002D68: 7F640280
	v_mov_b32_e32 v107, 0                                      // 000000002D6C: 7ED60280
	v_mov_b32_e32 v179, 0                                      // 000000002D70: 7F660280
	v_mov_b32_e32 v108, 0                                      // 000000002D74: 7ED80280
	v_mov_b32_e32 v180, 0                                      // 000000002D78: 7F680280
	v_mov_b32_e32 v109, 0                                      // 000000002D7C: 7EDA0280
	v_mov_b32_e32 v181, 0                                      // 000000002D80: 7F6A0280
	v_mov_b32_e32 v110, 0                                      // 000000002D84: 7EDC0280
	v_mov_b32_e32 v182, 0                                      // 000000002D88: 7F6C0280
	v_mov_b32_e32 v111, 0                                      // 000000002D8C: 7EDE0280
	v_mov_b32_e32 v183, 0                                      // 000000002D90: 7F6E0280
	v_mov_b32_e32 v112, 0                                      // 000000002D94: 7EE00280
	v_mov_b32_e32 v184, 0                                      // 000000002D98: 7F700280
	v_mov_b32_e32 v113, 0                                      // 000000002D9C: 7EE20280
	v_mov_b32_e32 v185, 0                                      // 000000002DA0: 7F720280
	v_mov_b32_e32 v114, 0                                      // 000000002DA4: 7EE40280
	v_mov_b32_e32 v186, 0                                      // 000000002DA8: 7F740280
	v_mov_b32_e32 v115, 0                                      // 000000002DAC: 7EE60280
	v_mov_b32_e32 v187, 0                                      // 000000002DB0: 7F760280
	v_mov_b32_e32 v116, 0                                      // 000000002DB4: 7EE80280
	v_mov_b32_e32 v188, 0                                      // 000000002DB8: 7F780280
	v_mov_b32_e32 v117, 0                                      // 000000002DBC: 7EEA0280
	v_mov_b32_e32 v189, 0                                      // 000000002DC0: 7F7A0280
	v_mov_b32_e32 v118, 0                                      // 000000002DC4: 7EEC0280
	v_mov_b32_e32 v190, 0                                      // 000000002DC8: 7F7C0280
	v_mov_b32_e32 v119, 0                                      // 000000002DCC: 7EEE0280
	v_mov_b32_e32 v191, 0                                      // 000000002DD0: 7F7E0280
	v_mov_b32_e32 v120, 0                                      // 000000002DD4: 7EF00280
	v_mov_b32_e32 v192, 0                                      // 000000002DD8: 7F800280
	v_mov_b32_e32 v121, 0                                      // 000000002DDC: 7EF20280
	v_mov_b32_e32 v193, 0                                      // 000000002DE0: 7F820280
	v_mov_b32_e32 v122, 0                                      // 000000002DE4: 7EF40280
	v_mov_b32_e32 v194, 0                                      // 000000002DE8: 7F840280
	v_mov_b32_e32 v123, 0                                      // 000000002DEC: 7EF60280
	v_mov_b32_e32 v195, 0                                      // 000000002DF0: 7F860280
	v_mov_b32_e32 v124, 0                                      // 000000002DF4: 7EF80280
	v_mov_b32_e32 v196, 0                                      // 000000002DF8: 7F880280
	v_mov_b32_e32 v125, 0                                      // 000000002DFC: 7EFA0280
	v_mov_b32_e32 v197, 0                                      // 000000002E00: 7F8A0280
	v_mov_b32_e32 v126, 0                                      // 000000002E04: 7EFC0280
	v_mov_b32_e32 v198, 0                                      // 000000002E08: 7F8C0280
	v_mov_b32_e32 v127, 0                                      // 000000002E0C: 7EFE0280
	v_mov_b32_e32 v199, 0                                      // 000000002E10: 7F8E0280
	v_mov_b32_e32 v128, 0                                      // 000000002E14: 7F000280
	v_mov_b32_e32 v200, 0                                      // 000000002E18: 7F900280
	v_mov_b32_e32 v129, 0                                      // 000000002E1C: 7F020280
	v_mov_b32_e32 v201, 0                                      // 000000002E20: 7F920280
	v_mov_b32_e32 v130, 0                                      // 000000002E24: 7F040280
	v_mov_b32_e32 v202, 0                                      // 000000002E28: 7F940280
	v_mov_b32_e32 v131, 0                                      // 000000002E2C: 7F060280
	v_mov_b32_e32 v203, 0                                      // 000000002E30: 7F960280
	v_mov_b32_e32 v132, 0                                      // 000000002E34: 7F080280
	v_mov_b32_e32 v204, 0                                      // 000000002E38: 7F980280
	v_mov_b32_e32 v133, 0                                      // 000000002E3C: 7F0A0280
	v_mov_b32_e32 v205, 0                                      // 000000002E40: 7F9A0280
	v_mov_b32_e32 v134, 0                                      // 000000002E44: 7F0C0280
	v_mov_b32_e32 v206, 0                                      // 000000002E48: 7F9C0280
	v_mov_b32_e32 v135, 0                                      // 000000002E4C: 7F0E0280
	v_mov_b32_e32 v207, 0                                      // 000000002E50: 7F9E0280
	v_mov_b32_e32 v136, 0                                      // 000000002E54: 7F100280
	v_mov_b32_e32 v208, 0                                      // 000000002E58: 7FA00280
	v_mov_b32_e32 v137, 0                                      // 000000002E5C: 7F120280
	v_mov_b32_e32 v209, 0                                      // 000000002E60: 7FA20280
	v_mov_b32_e32 v138, 0                                      // 000000002E64: 7F140280
	v_mov_b32_e32 v210, 0                                      // 000000002E68: 7FA40280
	v_mov_b32_e32 v139, 0                                      // 000000002E6C: 7F160280
	v_mov_b32_e32 v211, 0                                      // 000000002E70: 7FA60280
	v_mov_b32_e32 v140, 0                                      // 000000002E74: 7F180280
	v_mov_b32_e32 v212, 0                                      // 000000002E78: 7FA80280
	v_mov_b32_e32 v141, 0                                      // 000000002E7C: 7F1A0280
	v_mov_b32_e32 v213, 0                                      // 000000002E80: 7FAA0280
	v_mov_b32_e32 v142, 0                                      // 000000002E84: 7F1C0280
	v_mov_b32_e32 v214, 0                                      // 000000002E88: 7FAC0280
	v_mov_b32_e32 v143, 0                                      // 000000002E8C: 7F1E0280
	v_mov_b32_e32 v215, 0                                      // 000000002E90: 7FAE0280
	v_mov_b32_e32 v144, 0                                      // 000000002E94: 7F200280
	v_mov_b32_e32 v216, 0                                      // 000000002E98: 7FB00280
	v_mov_b32_e32 v145, 0                                      // 000000002E9C: 7F220280
	v_mov_b32_e32 v217, 0                                      // 000000002EA0: 7FB20280
	v_mov_b32_e32 v146, 0                                      // 000000002EA4: 7F240280
	v_mov_b32_e32 v218, 0                                      // 000000002EA8: 7FB40280
	v_mov_b32_e32 v147, 0                                      // 000000002EAC: 7F260280
	v_mov_b32_e32 v219, 0                                      // 000000002EB0: 7FB60280
	v_mov_b32_e32 v148, 0                                      // 000000002EB4: 7F280280
	v_mov_b32_e32 v220, 0                                      // 000000002EB8: 7FB80280
	v_mov_b32_e32 v149, 0                                      // 000000002EBC: 7F2A0280
	v_mov_b32_e32 v221, 0                                      // 000000002EC0: 7FBA0280
	v_mov_b32_e32 v150, 0                                      // 000000002EC4: 7F2C0280
	v_mov_b32_e32 v222, 0                                      // 000000002EC8: 7FBC0280
	v_mov_b32_e32 v151, 0                                      // 000000002ECC: 7F2E0280
	v_mov_b32_e32 v223, 0                                      // 000000002ED0: 7FBE0280
	v_mov_b32_e32 v152, 0                                      // 000000002ED4: 7F300280
	v_mov_b32_e32 v224, 0                                      // 000000002ED8: 7FC00280
	v_mov_b32_e32 v153, 0                                      // 000000002EDC: 7F320280
	v_mov_b32_e32 v225, 0                                      // 000000002EE0: 7FC20280
	v_mov_b32_e32 v154, 0                                      // 000000002EE4: 7F340280
	v_mov_b32_e32 v226, 0                                      // 000000002EE8: 7FC40280
	v_mov_b32_e32 v155, 0                                      // 000000002EEC: 7F360280
	v_mov_b32_e32 v227, 0                                      // 000000002EF0: 7FC60280
	s_mul_i32 s60, s2, 0x100                                   // 000000002EF4: 923CFF02 00000100
	s_cmp_eq_u32 s88, 0                                        // 000000002EFC: BF068058
	s_cselect_b32 s61, 1, 2                                    // 000000002F00: 853D8281
	s_mul_i32 s60, s60, s61                                    // 000000002F04: 923C3D3C
	s_mov_b32 s90, s8                                          // 000000002F08: BEDA0008
	s_mov_b32 s91, s9                                          // 000000002F0C: BEDB0009
	s_add_u32 s8, s60, s8                                      // 000000002F10: 8008083C
	s_addc_u32 s9, 0, s9                                       // 000000002F14: 82090980
	v_lshrrev_b32_e32 v4, 4, v0                                // 000000002F18: 20080084
	v_mul_lo_u32 v20, 34, v4                                   // 000000002F1C: D2850014 000208A2
	v_and_b32_e32 v4, 15, v0                                   // 000000002F24: 2608008F
	v_mul_lo_u32 v5, 2, v4                                     // 000000002F28: D2850005 00020882
	v_add_u32_e32 v20, v5, v20                                 // 000000002F30: 68282905
	s_mul_i32 s60, s7, 0x88                                    // 000000002F34: 923CFF07 00000088
	v_add_u32_e32 v20, s60, v20                                // 000000002F3C: 6828283C
	v_lshlrev_b32_e32 v20, 2, v20                              // 000000002F40: 24282882
	v_and_b32_e32 v4, 31, v0                                   // 000000002F44: 2608009F
	v_lshrrev_b32_e32 v4, 1, v4                                // 000000002F48: 20080881
	v_mul_lo_u32 v21, 34, v4                                   // 000000002F4C: D2850015 000208A2
	v_lshrrev_b32_e32 v4, 5, v0                                // 000000002F54: 20080085
	v_mul_lo_u32 v4, 8, v4                                     // 000000002F58: D2850004 00020888
	v_add_u32_e32 v21, v21, v4                                 // 000000002F60: 682A0915
	v_and_b32_e32 v5, 1, v0                                    // 000000002F64: 260A0081
	v_add_u32_e32 v21, v5, v21                                 // 000000002F68: 682A2B05
	s_mul_i32 s60, s7, 2                                       // 000000002F6C: 923C8207
	v_add_u32_e32 v21, s60, v21                                // 000000002F70: 682A2A3C
	v_lshlrev_b32_e32 v21, 2, v21                              // 000000002F74: 242A2A82
	s_mul_i32 s60, s7, 0x1220                                  // 000000002F78: 923CFF07 00001220
	s_add_u32 s48, 0, s60                                      // 000000002F80: 80303C80
	s_add_u32 s49, 0x4880, s48                                 // 000000002F84: 803130FF 00004880
	v_lshrrev_b32_e32 v4, 4, v0                                // 000000002F8C: 20080084
	v_lshlrev_b32_e32 v5, 2, v4                                // 000000002F90: 240A0882
	v_and_b32_e32 v4, 15, v0                                   // 000000002F94: 2608008F
	v_lshrrev_b32_e32 v6, 2, v4                                // 000000002F98: 200C0882
	v_lshlrev_b32_e32 v6, 5, v6                                // 000000002F9C: 240C0C85
	v_add_u32_e32 v5, v6, v5                                   // 000000002FA0: 680A0B06
	v_and_b32_e32 v4, 3, v0                                    // 000000002FA4: 26080083
	v_mul_u32_u24_e32 v6, 0x488, v4                            // 000000002FA8: 100C08FF 00000488
	v_add_u32_e32 v5, v6, v5                                   // 000000002FB0: 680A0B06
	v_lshlrev_b32_e32 v2, 2, v5                                // 000000002FB4: 24040A82
	s_waitcnt lgkmcnt(0)                                       // 000000002FB8: BF8CC07F
	s_mul_i32 s60, s2, 0x80                                    // 000000002FBC: 923CFF02 00000080
	s_mul_i32 s60, s60, s69                                    // 000000002FC4: 923C453C
	s_mul_i32 s61, s5, s72                                     // 000000002FC8: 923D4805
	s_add_u32 s60, s61, s60                                    // 000000002FCC: 803C3C3D
	s_add_u32 s24, s60, s24                                    // 000000002FD0: 8018183C
	s_addc_u32 s25, 0, s25                                     // 000000002FD4: 82191980
	s_lshr_b32 s60, s64, s88                                   // 000000002FD8: 8F3C5840
	s_mul_i32 s60, s4, s60                                     // 000000002FDC: 923C3C04
	s_lshr_b32 s60, s60, 7                                     // 000000002FE0: 8F3C873C
	s_mul_i32 s60, s60, 0x800                                  // 000000002FE4: 923CFF3C 00000800
	s_add_u32 s24, s60, s24                                    // 000000002FEC: 8018183C
	s_addc_u32 s25, 0, s25                                     // 000000002FF0: 82191980
	s_lshr_b32 s60, s69, s88                                   // 000000002FF4: 8F3C5845
	s_mul_i32 s60, s4, s60                                     // 000000002FF8: 923C3C04
	s_add_u32 s20, s60, s20                                    // 000000002FFC: 8014143C
	s_addc_u32 s21, 0, s21                                     // 000000003000: 82151580
	s_mul_i32 s60, s7, 16                                      // 000000003004: 923C9007
	s_mul_i32 s60, s60, s69                                    // 000000003008: 923C453C
	v_lshlrev_b32_e32 v82, 4, v0                               // 00000000300C: 24A40084
	v_add_u32_e32 v82, s60, v82                                // 000000003010: 68A4A43C
	s_mul_i32 s60, 64, s69                                     // 000000003014: 923C45C0
	v_add_u32_e32 v83, s60, v82                                // 000000003018: 68A6A43C
	s_mov_b32 s84, s24                                         // 00000000301C: BED40018
	s_mov_b32 s85, s25                                         // 000000003020: BED50019
	s_mov_b32 s86, s26                                         // 000000003024: BED6001A
	s_mov_b32 s87, s27                                         // 000000003028: BED7001B
	s_mul_i32 s60, s69, s65                                    // 00000000302C: 923C4145
	s_add_u32 s84, s60, s84                                    // 000000003030: 8054543C
	s_addc_u32 s85, 0, s85                                     // 000000003034: 82555580
	v_lshrrev_b32_e32 v4, 4, v0                                // 000000003038: 20080084
	v_lshlrev_b32_e32 v5, 2, v4                                // 00000000303C: 240A0882
	v_and_b32_e32 v4, 15, v0                                   // 000000003040: 2608008F
	v_lshrrev_b32_e32 v6, 2, v4                                // 000000003044: 200C0882
	v_lshlrev_b32_e32 v6, 6, v6                                // 000000003048: 240C0C86
	v_add_u32_e32 v5, v6, v5                                   // 00000000304C: 680A0B06
	v_and_b32_e32 v4, 3, v0                                    // 000000003050: 26080083
	v_add_u32_e32 v5, v4, v5                                   // 000000003054: 680A0B04
	v_lshlrev_b32_e32 v22, 2, v5                               // 000000003058: 242C0A82
	s_mul_i32 s60, s7, 16                                      // 00000000305C: 923C9007
	s_mul_i32 s60, s60, 4                                      // 000000003060: 923C843C
	v_add_u32_e32 v22, s60, v22                                // 000000003064: 682C2C3C
	s_mul_i32 s60, s2, 0x80                                    // 000000003068: 923CFF02 00000080
	s_mul_i32 s60, s60, 4                                      // 000000003070: 923C843C
	s_mul_i32 s61, s5, s74                                     // 000000003074: 923D4A05
	s_add_u32 s61, s61, s60                                    // 000000003078: 803D3C3D
	s_add_u32 s32, s61, s32                                    // 00000000307C: 8020203D
	s_addc_u32 s33, 0, s33                                     // 000000003080: 82212180
	s_mov_b32 s57, 0x80                                        // 000000003084: BEB900FF 00000080
	s_mov_b32 s58, 0x800                                       // 00000000308C: BEBA00FF 00000800
	s_mov_b32 s83, s58                                         // 000000003094: BED3003A
	s_mov_b32 s52, 0x7060302                                   // 000000003098: BEB400FF 07060302
	s_mov_b32 s53, 0x400                                       // 0000000030A0: BEB500FF 00000400
	s_mov_b32 s54, 0x40100                                     // 0000000030A8: BEB600FF 00040100
	s_mov_b32 s55, 0x4020100                                   // 0000000030B0: BEB700FF 04020100
	s_mov_b32 s6, 0x3fb8aa3b                                   // 0000000030B8: BE8600FF 3FB8AA3B
	s_mov_b32 s78, 0xbd92220c                                  // 0000000030C0: BECE00FF BD92220C
	s_mov_b32 s79, 0xbd92220c                                  // 0000000030C8: BECF00FF BD92220C
	s_mov_b32 m0, s48                                          // 0000000030D0: BEFC0030
	v_mov_b32_e32 v1, 0xbfcc4231                               // 0000000030D4: 7E0202FF BFCC4231
	v_mov_b32_e32 v17, 0xffff0000                              // 0000000030DC: 7E2202FF FFFF0000
	v_mov_b32_e32 v18, 0x7fff0000                              // 0000000030E4: 7E2402FF 7FFF0000
	v_mov_b32_e32 v19, 0x7fff                                  // 0000000030EC: 7E2602FF 00007FFF
	s_waitcnt vmcnt(0) expcnt(0) lgkmcnt(0)                    // 0000000030F4: BF8C0000
	v_lshrrev_b32_e32 v4, 5, v0                                // 0000000030F8: 20080085
	v_xor_b32_e32 v5, 1, v4                                    // 0000000030FC: 2A0A0881
	v_readlane_b32 s82, v3, 0                                  // 000000003100: D2890052 00010103
	s_and_b32 s82, s82, 0xffffff                               // 000000003108: 8652FF52 00FFFFFF
	v_mul_lo_u32 v6, v5, s82                                   // 000000003110: D2850006 0000A505
	v_readlane_b32 s82, v3, 1                                  // 000000003118: D2890052 00010303
	s_and_b32 s82, s82, 0xffffff                               // 000000003120: 8652FF52 00FFFFFF
	v_mul_lo_u32 v7, v4, s82                                   // 000000003128: D2850007 0000A504
	v_add_u32_e32 v64, v6, v7                                  // 000000003130: 68800F06
	v_mul_lo_u32 v64, v64, s68                                 // 000000003134: D2850040 00008940
	v_readlane_b32 s82, v3, 2                                  // 00000000313C: D2890052 00010503
	s_and_b32 s82, s82, 0xffffff                               // 000000003144: 8652FF52 00FFFFFF
	v_mul_lo_u32 v6, v5, s82                                   // 00000000314C: D2850006 0000A505
	v_readlane_b32 s82, v3, 3                                  // 000000003154: D2890052 00010703
	s_and_b32 s82, s82, 0xffffff                               // 00000000315C: 8652FF52 00FFFFFF
	v_mul_lo_u32 v7, v4, s82                                   // 000000003164: D2850007 0000A504
	v_add_u32_e32 v65, v6, v7                                  // 00000000316C: 68820F06
	v_mul_lo_u32 v65, v65, s68                                 // 000000003170: D2850041 00008941
	v_readlane_b32 s82, v3, 4                                  // 000000003178: D2890052 00010903
	s_and_b32 s82, s82, 0xffffff                               // 000000003180: 8652FF52 00FFFFFF
	v_mul_lo_u32 v6, v5, s82                                   // 000000003188: D2850006 0000A505
	v_readlane_b32 s82, v3, 5                                  // 000000003190: D2890052 00010B03
	s_and_b32 s82, s82, 0xffffff                               // 000000003198: 8652FF52 00FFFFFF
	v_mul_lo_u32 v7, v4, s82                                   // 0000000031A0: D2850007 0000A504
	v_add_u32_e32 v66, v6, v7                                  // 0000000031A8: 68840F06
	v_mul_lo_u32 v66, v66, s68                                 // 0000000031AC: D2850042 00008942
	v_readlane_b32 s82, v3, 6                                  // 0000000031B4: D2890052 00010D03
	s_and_b32 s82, s82, 0xffffff                               // 0000000031BC: 8652FF52 00FFFFFF
	v_mul_lo_u32 v6, v5, s82                                   // 0000000031C4: D2850006 0000A505
	v_readlane_b32 s82, v3, 7                                  // 0000000031CC: D2890052 00010F03
	s_and_b32 s82, s82, 0xffffff                               // 0000000031D4: 8652FF52 00FFFFFF
	v_mul_lo_u32 v7, v4, s82                                   // 0000000031DC: D2850007 0000A504
	v_add_u32_e32 v67, v6, v7                                  // 0000000031E4: 68860F06
	v_mul_lo_u32 v67, v67, s68                                 // 0000000031E8: D2850043 00008943
	v_readlane_b32 s82, v3, 8                                  // 0000000031F0: D2890052 00011103
	s_and_b32 s82, s82, 0xffffff                               // 0000000031F8: 8652FF52 00FFFFFF
	v_mul_lo_u32 v6, v5, s82                                   // 000000003200: D2850006 0000A505
	v_readlane_b32 s82, v3, 9                                  // 000000003208: D2890052 00011303
	s_and_b32 s82, s82, 0xffffff                               // 000000003210: 8652FF52 00FFFFFF
	v_mul_lo_u32 v7, v4, s82                                   // 000000003218: D2850007 0000A504
	v_add_u32_e32 v68, v6, v7                                  // 000000003220: 68880F06
	v_mul_lo_u32 v68, v68, s68                                 // 000000003224: D2850044 00008944
	v_readlane_b32 s82, v3, 10                                 // 00000000322C: D2890052 00011503
	s_and_b32 s82, s82, 0xffffff                               // 000000003234: 8652FF52 00FFFFFF
	v_mul_lo_u32 v6, v5, s82                                   // 00000000323C: D2850006 0000A505
	v_readlane_b32 s82, v3, 11                                 // 000000003244: D2890052 00011703
	s_and_b32 s82, s82, 0xffffff                               // 00000000324C: 8652FF52 00FFFFFF
	v_mul_lo_u32 v7, v4, s82                                   // 000000003254: D2850007 0000A504
	v_add_u32_e32 v69, v6, v7                                  // 00000000325C: 688A0F06
	v_mul_lo_u32 v69, v69, s68                                 // 000000003260: D2850045 00008945
	v_readlane_b32 s82, v3, 12                                 // 000000003268: D2890052 00011903
	s_and_b32 s82, s82, 0xffffff                               // 000000003270: 8652FF52 00FFFFFF
	v_mul_lo_u32 v6, v5, s82                                   // 000000003278: D2850006 0000A505
	v_readlane_b32 s82, v3, 13                                 // 000000003280: D2890052 00011B03
	s_and_b32 s82, s82, 0xffffff                               // 000000003288: 8652FF52 00FFFFFF
	v_mul_lo_u32 v7, v4, s82                                   // 000000003290: D2850007 0000A504
	v_add_u32_e32 v70, v6, v7                                  // 000000003298: 688C0F06
	v_mul_lo_u32 v70, v70, s68                                 // 00000000329C: D2850046 00008946
	v_readlane_b32 s82, v3, 14                                 // 0000000032A4: D2890052 00011D03
	s_and_b32 s82, s82, 0xffffff                               // 0000000032AC: 8652FF52 00FFFFFF
	v_mul_lo_u32 v6, v5, s82                                   // 0000000032B4: D2850006 0000A505
	v_readlane_b32 s82, v3, 15                                 // 0000000032BC: D2890052 00011F03
	s_and_b32 s82, s82, 0xffffff                               // 0000000032C4: 8652FF52 00FFFFFF
	v_mul_lo_u32 v7, v4, s82                                   // 0000000032CC: D2850007 0000A504
	v_add_u32_e32 v71, v6, v7                                  // 0000000032D4: 688E0F06
	v_mul_lo_u32 v71, v71, s68                                 // 0000000032D8: D2850047 00008947
	v_readlane_b32 s82, v3, 16                                 // 0000000032E0: D2890052 00012103
	s_and_b32 s82, s82, 0xffffff                               // 0000000032E8: 8652FF52 00FFFFFF
	v_mul_lo_u32 v6, v5, s82                                   // 0000000032F0: D2850006 0000A505
	v_readlane_b32 s82, v3, 17                                 // 0000000032F8: D2890052 00012303
	s_and_b32 s82, s82, 0xffffff                               // 000000003300: 8652FF52 00FFFFFF
	v_mul_lo_u32 v7, v4, s82                                   // 000000003308: D2850007 0000A504
	v_add_u32_e32 v72, v6, v7                                  // 000000003310: 68900F06
	v_mul_lo_u32 v72, v72, s68                                 // 000000003314: D2850048 00008948
	v_readlane_b32 s82, v3, 18                                 // 00000000331C: D2890052 00012503
	s_and_b32 s82, s82, 0xffffff                               // 000000003324: 8652FF52 00FFFFFF
	v_mul_lo_u32 v6, v5, s82                                   // 00000000332C: D2850006 0000A505
	v_readlane_b32 s82, v3, 19                                 // 000000003334: D2890052 00012703
	s_and_b32 s82, s82, 0xffffff                               // 00000000333C: 8652FF52 00FFFFFF
	v_mul_lo_u32 v7, v4, s82                                   // 000000003344: D2850007 0000A504
	v_add_u32_e32 v73, v6, v7                                  // 00000000334C: 68920F06
	v_mul_lo_u32 v73, v73, s68                                 // 000000003350: D2850049 00008949
	v_readlane_b32 s82, v3, 20                                 // 000000003358: D2890052 00012903
	s_and_b32 s82, s82, 0xffffff                               // 000000003360: 8652FF52 00FFFFFF
	v_mul_lo_u32 v6, v5, s82                                   // 000000003368: D2850006 0000A505
	v_readlane_b32 s82, v3, 21                                 // 000000003370: D2890052 00012B03
	s_and_b32 s82, s82, 0xffffff                               // 000000003378: 8652FF52 00FFFFFF
	v_mul_lo_u32 v7, v4, s82                                   // 000000003380: D2850007 0000A504
	v_add_u32_e32 v74, v6, v7                                  // 000000003388: 68940F06
	v_mul_lo_u32 v74, v74, s68                                 // 00000000338C: D285004A 0000894A
	v_readlane_b32 s82, v3, 22                                 // 000000003394: D2890052 00012D03
	s_and_b32 s82, s82, 0xffffff                               // 00000000339C: 8652FF52 00FFFFFF
	v_mul_lo_u32 v6, v5, s82                                   // 0000000033A4: D2850006 0000A505
	v_readlane_b32 s82, v3, 23                                 // 0000000033AC: D2890052 00012F03
	s_and_b32 s82, s82, 0xffffff                               // 0000000033B4: 8652FF52 00FFFFFF
	v_mul_lo_u32 v7, v4, s82                                   // 0000000033BC: D2850007 0000A504
	v_add_u32_e32 v75, v6, v7                                  // 0000000033C4: 68960F06
	v_mul_lo_u32 v75, v75, s68                                 // 0000000033C8: D285004B 0000894B
	v_readlane_b32 s82, v3, 24                                 // 0000000033D0: D2890052 00013103
	s_and_b32 s82, s82, 0xffffff                               // 0000000033D8: 8652FF52 00FFFFFF
	v_mul_lo_u32 v6, v5, s82                                   // 0000000033E0: D2850006 0000A505
	v_readlane_b32 s82, v3, 25                                 // 0000000033E8: D2890052 00013303
	s_and_b32 s82, s82, 0xffffff                               // 0000000033F0: 8652FF52 00FFFFFF
	v_mul_lo_u32 v7, v4, s82                                   // 0000000033F8: D2850007 0000A504
	v_add_u32_e32 v76, v6, v7                                  // 000000003400: 68980F06
	v_mul_lo_u32 v76, v76, s68                                 // 000000003404: D285004C 0000894C
	v_readlane_b32 s82, v3, 26                                 // 00000000340C: D2890052 00013503
	s_and_b32 s82, s82, 0xffffff                               // 000000003414: 8652FF52 00FFFFFF
	v_mul_lo_u32 v6, v5, s82                                   // 00000000341C: D2850006 0000A505
	v_readlane_b32 s82, v3, 27                                 // 000000003424: D2890052 00013703
	s_and_b32 s82, s82, 0xffffff                               // 00000000342C: 8652FF52 00FFFFFF
	v_mul_lo_u32 v7, v4, s82                                   // 000000003434: D2850007 0000A504
	v_add_u32_e32 v77, v6, v7                                  // 00000000343C: 689A0F06
	v_mul_lo_u32 v77, v77, s68                                 // 000000003440: D285004D 0000894D
	v_readlane_b32 s82, v3, 28                                 // 000000003448: D2890052 00013903
	s_and_b32 s82, s82, 0xffffff                               // 000000003450: 8652FF52 00FFFFFF
	v_mul_lo_u32 v6, v5, s82                                   // 000000003458: D2850006 0000A505
	v_readlane_b32 s82, v3, 29                                 // 000000003460: D2890052 00013B03
	s_and_b32 s82, s82, 0xffffff                               // 000000003468: 8652FF52 00FFFFFF
	v_mul_lo_u32 v7, v4, s82                                   // 000000003470: D2850007 0000A504
	v_add_u32_e32 v78, v6, v7                                  // 000000003478: 689C0F06
	v_mul_lo_u32 v78, v78, s68                                 // 00000000347C: D285004E 0000894E
	v_readlane_b32 s82, v3, 30                                 // 000000003484: D2890052 00013D03
	s_and_b32 s82, s82, 0xffffff                               // 00000000348C: 8652FF52 00FFFFFF
	v_mul_lo_u32 v6, v5, s82                                   // 000000003494: D2850006 0000A505
	v_readlane_b32 s82, v3, 31                                 // 00000000349C: D2890052 00013F03
	s_and_b32 s82, s82, 0xffffff                               // 0000000034A4: 8652FF52 00FFFFFF
	v_mul_lo_u32 v7, v4, s82                                   // 0000000034AC: D2850007 0000A504
	v_add_u32_e32 v79, v6, v7                                  // 0000000034B4: 689E0F06
	v_mul_lo_u32 v79, v79, s68                                 // 0000000034B8: D285004F 0000894F
	v_readlane_b32 s82, v3, 32                                 // 0000000034C0: D2890052 00014103
	s_and_b32 s82, s82, 0xffffff                               // 0000000034C8: 8652FF52 00FFFFFF
	v_mul_lo_u32 v6, v5, s82                                   // 0000000034D0: D2850006 0000A505
	v_readlane_b32 s82, v3, 33                                 // 0000000034D8: D2890052 00014303
	s_and_b32 s82, s82, 0xffffff                               // 0000000034E0: 8652FF52 00FFFFFF
	v_mul_lo_u32 v7, v4, s82                                   // 0000000034E8: D2850007 0000A504
	v_add_u32_e32 v80, v6, v7                                  // 0000000034F0: 68A00F06
	v_mul_lo_u32 v80, v80, s68                                 // 0000000034F4: D2850050 00008950
	v_readlane_b32 s82, v3, 34                                 // 0000000034FC: D2890052 00014503
	s_and_b32 s82, s82, 0xffffff                               // 000000003504: 8652FF52 00FFFFFF
	v_mul_lo_u32 v6, v5, s82                                   // 00000000350C: D2850006 0000A505
	v_readlane_b32 s82, v3, 35                                 // 000000003514: D2890052 00014703
	s_and_b32 s82, s82, 0xffffff                               // 00000000351C: 8652FF52 00FFFFFF
	v_mul_lo_u32 v7, v4, s82                                   // 000000003524: D2850007 0000A504
	v_add_u32_e32 v81, v6, v7                                  // 00000000352C: 68A20F06
	v_mul_lo_u32 v81, v81, s68                                 // 000000003530: D2850051 00008951
	v_and_b32_e32 v4, 31, v0                                   // 000000003538: 2608009F
	v_lshlrev_b32_e32 v4, 2, v4                                // 00000000353C: 24080882
	v_add_u32_e32 v64, v64, v4                                 // 000000003540: 68800940
	v_add_u32_e32 v65, v65, v4                                 // 000000003544: 68820941
	;; [unrolled: 1-line block ×3, first 2 shown]
	v_add_u32_e32 v67, v67, v4                                 // 00000000354C: 68860943
	v_add_u32_e32 v68, v68, v4                                 // 000000003550: 68880944
	v_add_u32_e32 v69, v69, v4                                 // 000000003554: 688A0945
	v_add_u32_e32 v70, v70, v4                                 // 000000003558: 688C0946
	v_add_u32_e32 v71, v71, v4                                 // 00000000355C: 688E0947
	v_add_u32_e32 v72, v72, v4                                 // 000000003560: 68900948
	v_add_u32_e32 v73, v73, v4                                 // 000000003564: 68920949
	v_add_u32_e32 v74, v74, v4                                 // 000000003568: 6894094A
	v_add_u32_e32 v75, v75, v4                                 // 00000000356C: 6896094B
	v_add_u32_e32 v76, v76, v4                                 // 000000003570: 6898094C
	v_add_u32_e32 v77, v77, v4                                 // 000000003574: 689A094D
	v_add_u32_e32 v78, v78, v4                                 // 000000003578: 689C094E
	v_add_u32_e32 v79, v79, v4                                 // 00000000357C: 689E094F
	v_add_u32_e32 v80, v80, v4                                 // 000000003580: 68A00950
	v_add_u32_e32 v81, v81, v4                                 // 000000003584: 68A20951
	v_and_b32_e32 v28, 0xffffff, v28                           // 000000003588: 263838FF 00FFFFFF
	v_lshlrev_b32_e32 v28, 2, v28                              // 000000003590: 24383882
	v_and_b32_e32 v29, 0xffffff, v29                           // 000000003594: 263A3AFF 00FFFFFF
	v_lshlrev_b32_e32 v29, 2, v29                              // 00000000359C: 243A3A82
	v_and_b32_e32 v30, 0xffffff, v30                           // 0000000035A0: 263C3CFF 00FFFFFF
	v_lshlrev_b32_e32 v30, 2, v30                              // 0000000035A8: 243C3C82
	v_and_b32_e32 v31, 0xffffff, v31                           // 0000000035AC: 263E3EFF 00FFFFFF
	v_lshlrev_b32_e32 v31, 2, v31                              // 0000000035B4: 243E3E82
	v_and_b32_e32 v32, 0xffffff, v32                           // 0000000035B8: 264040FF 00FFFFFF
	v_lshlrev_b32_e32 v32, 2, v32                              // 0000000035C0: 24404082
	v_and_b32_e32 v33, 0xffffff, v33                           // 0000000035C4: 264242FF 00FFFFFF
	v_lshlrev_b32_e32 v33, 2, v33                              // 0000000035CC: 24424282
	v_and_b32_e32 v34, 0xffffff, v34                           // 0000000035D0: 264444FF 00FFFFFF
	v_lshlrev_b32_e32 v34, 2, v34                              // 0000000035D8: 24444482
	v_and_b32_e32 v35, 0xffffff, v35                           // 0000000035DC: 264646FF 00FFFFFF
	v_lshlrev_b32_e32 v35, 2, v35                              // 0000000035E4: 24464682
	v_and_b32_e32 v36, 0xffffff, v36                           // 0000000035E8: 264848FF 00FFFFFF
	v_lshlrev_b32_e32 v36, 2, v36                              // 0000000035F0: 24484882
	s_lshl_b32 s3, s66, 2                                      // 0000000035F4: 8E038242
	buffer_load_dword v37, v28, s[28:31], 0 offen              // 0000000035F8: E0501000 8007251C
	buffer_load_dword v38, v29, s[28:31], 0 offen              // 000000003600: E0501000 8007261D
	buffer_load_dword v39, v30, s[28:31], 0 offen              // 000000003608: E0501000 8007271E
	buffer_load_dword v40, v31, s[28:31], 0 offen              // 000000003610: E0501000 8007281F
	buffer_load_dword v41, v32, s[28:31], 0 offen              // 000000003618: E0501000 80072920
	buffer_load_dword v42, v33, s[28:31], 0 offen              // 000000003620: E0501000 80072A21
	buffer_load_dword v43, v34, s[28:31], 0 offen              // 000000003628: E0501000 80072B22
	buffer_load_dword v44, v35, s[28:31], 0 offen              // 000000003630: E0501000 80072C23
	buffer_load_dword v45, v36, s[28:31], 0 offen              // 000000003638: E0501000 80072D24
	buffer_load_dword v24, v22, s[32:35], 0 offen              // 000000003640: E0501000 80081816
	s_mul_i32 s60, 4, s65                                      // 000000003648: 923C4184
	s_add_u32 s32, s60, s32                                    // 00000000364C: 8020203C
	s_addc_u32 s33, 0, s33                                     // 000000003650: 82212180
	buffer_load_dword v26, v22, s[32:35], 0 offen              // 000000003654: E0501000 80081A16
	buffer_load_dword v64, s[20:23], 0 offen lds               // 00000000365C: E0511000 80050040
	s_add_u32 m0, 0x100, s48                                   // 000000003664: 807C30FF 00000100
	buffer_load_dword v65, s[20:23], 0 offen lds               // 00000000366C: E0511000 80050041
	s_add_u32 m0, 0x200, s48                                   // 000000003674: 807C30FF 00000200
	buffer_load_dword v66, s[20:23], 0 offen lds               // 00000000367C: E0511000 80050042
	s_add_u32 m0, 0x300, s48                                   // 000000003684: 807C30FF 00000300
	buffer_load_dword v67, s[20:23], 0 offen lds               // 00000000368C: E0511000 80050043
	s_add_u32 m0, 0x400, s48                                   // 000000003694: 807C30FF 00000400
	buffer_load_dword v68, s[20:23], 0 offen lds               // 00000000369C: E0511000 80050044
	s_add_u32 m0, 0x500, s48                                   // 0000000036A4: 807C30FF 00000500
	buffer_load_dword v69, s[20:23], 0 offen lds               // 0000000036AC: E0511000 80050045
	s_add_u32 m0, 0x600, s48                                   // 0000000036B4: 807C30FF 00000600
	buffer_load_dword v70, s[20:23], 0 offen lds               // 0000000036BC: E0511000 80050046
	s_add_u32 m0, 0x700, s48                                   // 0000000036C4: 807C30FF 00000700
	buffer_load_dword v71, s[20:23], 0 offen lds               // 0000000036CC: E0511000 80050047
	s_add_u32 m0, 0x800, s48                                   // 0000000036D4: 807C30FF 00000800
	buffer_load_dword v72, s[20:23], 0 offen lds               // 0000000036DC: E0511000 80050048
	s_add_u32 m0, 0x900, s48                                   // 0000000036E4: 807C30FF 00000900
	buffer_load_dword v73, s[20:23], 0 offen lds               // 0000000036EC: E0511000 80050049
	s_add_u32 m0, 0xa00, s48                                   // 0000000036F4: 807C30FF 00000A00
	buffer_load_dword v74, s[20:23], 0 offen lds               // 0000000036FC: E0511000 8005004A
	s_add_u32 m0, 0xb00, s48                                   // 000000003704: 807C30FF 00000B00
	buffer_load_dword v75, s[20:23], 0 offen lds               // 00000000370C: E0511000 8005004B
	s_add_u32 m0, 0xc00, s48                                   // 000000003714: 807C30FF 00000C00
	buffer_load_dword v76, s[20:23], 0 offen lds               // 00000000371C: E0511000 8005004C
	s_add_u32 m0, 0xd00, s48                                   // 000000003724: 807C30FF 00000D00
	buffer_load_dword v77, s[20:23], 0 offen lds               // 00000000372C: E0511000 8005004D
	s_add_u32 m0, 0xe00, s48                                   // 000000003734: 807C30FF 00000E00
	buffer_load_dword v78, s[20:23], 0 offen lds               // 00000000373C: E0511000 8005004E
	s_add_u32 m0, 0xf00, s48                                   // 000000003744: 807C30FF 00000F00
	buffer_load_dword v79, s[20:23], 0 offen lds               // 00000000374C: E0511000 8005004F
	s_add_u32 m0, 0x1000, s48                                  // 000000003754: 807C30FF 00001000
	buffer_load_dword v80, s[20:23], 0 offen lds               // 00000000375C: E0511000 80050050
	s_add_u32 m0, 0x1100, s48                                  // 000000003764: 807C30FF 00001100
	buffer_load_dword v81, s[20:23], 0 offen lds               // 00000000376C: E0511000 80050051
	s_add_u32 m0, 0, s49                                       // 000000003774: 807C3180
	s_add_u32 s20, s57, s20                                    // 000000003778: 80141439
	s_addc_u32 s21, 0, s21                                     // 00000000377C: 82151580
	buffer_load_dword v64, s[20:23], 0 offen lds               // 000000003780: E0511000 80050040
	s_add_u32 m0, 0x100, s49                                   // 000000003788: 807C31FF 00000100
	buffer_load_dword v65, s[20:23], 0 offen lds               // 000000003790: E0511000 80050041
	s_add_u32 m0, 0x200, s49                                   // 000000003798: 807C31FF 00000200
	buffer_load_dword v66, s[20:23], 0 offen lds               // 0000000037A0: E0511000 80050042
	s_add_u32 m0, 0x300, s49                                   // 0000000037A8: 807C31FF 00000300
	buffer_load_dword v67, s[20:23], 0 offen lds               // 0000000037B0: E0511000 80050043
	s_add_u32 m0, 0x400, s49                                   // 0000000037B8: 807C31FF 00000400
	buffer_load_dword v68, s[20:23], 0 offen lds               // 0000000037C0: E0511000 80050044
	s_add_u32 m0, 0x500, s49                                   // 0000000037C8: 807C31FF 00000500
	buffer_load_dword v69, s[20:23], 0 offen lds               // 0000000037D0: E0511000 80050045
	s_add_u32 m0, 0x600, s49                                   // 0000000037D8: 807C31FF 00000600
	buffer_load_dword v70, s[20:23], 0 offen lds               // 0000000037E0: E0511000 80050046
	s_add_u32 m0, 0x700, s49                                   // 0000000037E8: 807C31FF 00000700
	buffer_load_dword v71, s[20:23], 0 offen lds               // 0000000037F0: E0511000 80050047
	s_add_u32 m0, 0x800, s49                                   // 0000000037F8: 807C31FF 00000800
	buffer_load_dword v72, s[20:23], 0 offen lds               // 000000003800: E0511000 80050048
	s_add_u32 m0, 0x900, s49                                   // 000000003808: 807C31FF 00000900
	buffer_load_dword v73, s[20:23], 0 offen lds               // 000000003810: E0511000 80050049
	s_add_u32 m0, 0xa00, s49                                   // 000000003818: 807C31FF 00000A00
	buffer_load_dword v74, s[20:23], 0 offen lds               // 000000003820: E0511000 8005004A
	s_add_u32 m0, 0xb00, s49                                   // 000000003828: 807C31FF 00000B00
	buffer_load_dword v75, s[20:23], 0 offen lds               // 000000003830: E0511000 8005004B
	s_add_u32 m0, 0xc00, s49                                   // 000000003838: 807C31FF 00000C00
	buffer_load_dword v76, s[20:23], 0 offen lds               // 000000003840: E0511000 8005004C
	s_add_u32 m0, 0xd00, s49                                   // 000000003848: 807C31FF 00000D00
	buffer_load_dword v77, s[20:23], 0 offen lds               // 000000003850: E0511000 8005004D
	s_add_u32 m0, 0xe00, s49                                   // 000000003858: 807C31FF 00000E00
	buffer_load_dword v78, s[20:23], 0 offen lds               // 000000003860: E0511000 8005004E
	s_add_u32 m0, 0xf00, s49                                   // 000000003868: 807C31FF 00000F00
	buffer_load_dword v79, s[20:23], 0 offen lds               // 000000003870: E0511000 8005004F
	s_add_u32 m0, 0x1000, s49                                  // 000000003878: 807C31FF 00001000
	buffer_load_dword v80, s[20:23], 0 offen lds               // 000000003880: E0511000 80050050
	s_add_u32 m0, 0x1100, s49                                  // 000000003888: 807C31FF 00001100
	buffer_load_dword v81, s[20:23], 0 offen lds               // 000000003890: E0511000 80050051
	s_add_u32 m0, 0, s48                                       // 000000003898: 807C3080
	s_add_u32 s20, s57, s20                                    // 00000000389C: 80141439
	s_addc_u32 s21, 0, s21                                     // 0000000038A0: 82151580
	buffer_load_dwordx4 a[144:147], v82, s[24:27], 0 offen     // 0000000038A4: E05C1000 80869052
	buffer_load_dwordx4 a[148:151], v82, s[24:27], 0 offen offset:1024// 0000000038AC: E05C1400 80869452
	buffer_load_dwordx4 a[152:155], v83, s[24:27], 0 offen     // 0000000038B4: E05C1000 80869853
	buffer_load_dwordx4 a[156:159], v83, s[24:27], 0 offen offset:1024// 0000000038BC: E05C1400 80869C53
	s_add_u32 s24, s58, s24                                    // 0000000038C4: 8018183A
	s_addc_u32 s25, 0, s25                                     // 0000000038C8: 82191980
	s_waitcnt vmcnt(22)                                        // 0000000038CC: BF8C4F76
	s_barrier                                                  // 0000000038D0: BF8A0000
	ds_read_b128 a[0:3], v2                                    // 0000000038D4: DBFE0000 00000002
	ds_read_b128 a[4:7], v2 offset:64                          // 0000000038DC: DBFE0040 04000002
	ds_read_b128 a[8:11], v2 offset:512                        // 0000000038E4: DBFE0200 08000002
	ds_read_b128 a[12:15], v2 offset:576                       // 0000000038EC: DBFE0240 0C000002
	ds_read_b128 a[16:19], v2 offset:1024                      // 0000000038F4: DBFE0400 10000002
	ds_read_b128 a[20:23], v2 offset:1088                      // 0000000038FC: DBFE0440 14000002
	ds_read_b128 a[24:27], v2 offset:1536                      // 000000003904: DBFE0600 18000002
	ds_read_b128 a[28:31], v2 offset:1600                      // 00000000390C: DBFE0640 1C000002
	ds_read_b128 a[32:35], v2 offset:2048                      // 000000003914: DBFE0800 20000002
	ds_read_b128 a[36:39], v2 offset:2112                      // 00000000391C: DBFE0840 24000002
	ds_read_b128 a[40:43], v2 offset:2560                      // 000000003924: DBFE0A00 28000002
	ds_read_b128 a[44:47], v2 offset:2624                      // 00000000392C: DBFE0A40 2C000002
	ds_read_b128 a[48:51], v2 offset:3072                      // 000000003934: DBFE0C00 30000002
	ds_read_b128 a[52:55], v2 offset:3136                      // 00000000393C: DBFE0C40 34000002
	ds_read_b128 a[56:59], v2 offset:3584                      // 000000003944: DBFE0E00 38000002
	ds_read_b128 a[60:63], v2 offset:3648                      // 00000000394C: DBFE0E40 3C000002
	ds_read_b128 a[64:67], v2 offset:4096                      // 000000003954: DBFE1000 40000002
	ds_read_b128 a[68:71], v2 offset:4160                      // 00000000395C: DBFE1040 44000002
	s_cmp_lt_i32 s7, 2                                         // 000000003964: BF048207
	s_cbranch_scc0 label_1C9A                                  // 000000003968: BF8418BC

000000000000396c <label_03DB>:
	s_waitcnt vmcnt(2) lgkmcnt(0)                              // 00000000396C: BF8C0072
	s_barrier                                                  // 000000003970: BF8A0000
	v_mfma_f32_16x16x32_fp8_fp8 v[84:87], a[144:145], a[0:1], v[84:87]// 000000003974: D3F30054 1D520190
	v_mfma_f32_16x16x32_fp8_fp8 v[84:87], a[146:147], a[2:3], v[84:87]// 00000000397C: D3F30054 1D520592
	buffer_load_dwordx4 a[160:163], v82, s[84:87], 0 offen     // 000000003984: E05C1000 8095A052
	v_mfma_f32_16x16x32_fp8_fp8 v[84:87], a[148:149], a[4:5], v[84:87]// 00000000398C: D3F30054 1D520994
	v_mfma_f32_16x16x32_fp8_fp8 v[84:87], a[150:151], a[6:7], v[84:87]// 000000003994: D3F30054 1D520D96
	v_mfma_f32_16x16x32_fp8_fp8 v[88:91], a[144:145], a[8:9], v[88:91]// 00000000399C: D3F30058 1D621190
	v_mfma_f32_16x16x32_fp8_fp8 v[88:91], a[146:147], a[10:11], v[88:91]// 0000000039A4: D3F30058 1D621592
	buffer_load_dwordx4 a[164:167], v82, s[84:87], 0 offen offset:1024// 0000000039AC: E05C1400 8095A452
	v_mfma_f32_16x16x32_fp8_fp8 v[88:91], a[148:149], a[12:13], v[88:91]// 0000000039B4: D3F30058 1D621994
	v_mfma_f32_16x16x32_fp8_fp8 v[88:91], a[150:151], a[14:15], v[88:91]// 0000000039BC: D3F30058 1D621D96
	v_mfma_f32_16x16x32_fp8_fp8 v[92:95], a[144:145], a[16:17], v[92:95]// 0000000039C4: D3F3005C 1D722190
	v_mfma_f32_16x16x32_fp8_fp8 v[92:95], a[146:147], a[18:19], v[92:95]// 0000000039CC: D3F3005C 1D722592
	buffer_load_dwordx4 a[168:171], v83, s[84:87], 0 offen     // 0000000039D4: E05C1000 8095A853
	v_mfma_f32_16x16x32_fp8_fp8 v[92:95], a[148:149], a[20:21], v[92:95]// 0000000039DC: D3F3005C 1D722994
	v_mfma_f32_16x16x32_fp8_fp8 v[92:95], a[150:151], a[22:23], v[92:95]// 0000000039E4: D3F3005C 1D722D96
	v_mfma_f32_16x16x32_fp8_fp8 v[96:99], a[144:145], a[24:25], v[96:99]// 0000000039EC: D3F30060 1D823190
	v_mfma_f32_16x16x32_fp8_fp8 v[96:99], a[146:147], a[26:27], v[96:99]// 0000000039F4: D3F30060 1D823592
	buffer_load_dwordx4 a[172:175], v83, s[84:87], 0 offen offset:1024// 0000000039FC: E05C1400 8095AC53
	buffer_load_dword v64, s[20:23], 0 offen lds               // 000000003A04: E0511000 80050040
	s_add_u32 m0, 0x100, s48                                   // 000000003A0C: 807C30FF 00000100
	v_mfma_f32_16x16x32_fp8_fp8 v[96:99], a[148:149], a[28:29], v[96:99]// 000000003A14: D3F30060 1D823994
	v_mfma_f32_16x16x32_fp8_fp8 v[96:99], a[150:151], a[30:31], v[96:99]// 000000003A1C: D3F30060 1D823D96
	buffer_load_dword v65, s[20:23], 0 offen lds               // 000000003A24: E0511000 80050041
	s_add_u32 m0, 0x200, s48                                   // 000000003A2C: 807C30FF 00000200
	v_mfma_f32_16x16x32_fp8_fp8 v[100:103], a[144:145], a[32:33], v[100:103]// 000000003A34: D3F30064 1D924190
	v_mfma_f32_16x16x32_fp8_fp8 v[100:103], a[146:147], a[34:35], v[100:103]// 000000003A3C: D3F30064 1D924592
	buffer_load_dword v66, s[20:23], 0 offen lds               // 000000003A44: E0511000 80050042
	s_add_u32 m0, 0x300, s48                                   // 000000003A4C: 807C30FF 00000300
	v_mfma_f32_16x16x32_fp8_fp8 v[100:103], a[148:149], a[36:37], v[100:103]// 000000003A54: D3F30064 1D924994
	v_mfma_f32_16x16x32_fp8_fp8 v[100:103], a[150:151], a[38:39], v[100:103]// 000000003A5C: D3F30064 1D924D96
	buffer_load_dword v67, s[20:23], 0 offen lds               // 000000003A64: E0511000 80050043
	s_add_u32 m0, 0x400, s48                                   // 000000003A6C: 807C30FF 00000400
	v_mfma_f32_16x16x32_fp8_fp8 v[104:107], a[144:145], a[40:41], v[104:107]// 000000003A74: D3F30068 1DA25190
	v_mfma_f32_16x16x32_fp8_fp8 v[104:107], a[146:147], a[42:43], v[104:107]// 000000003A7C: D3F30068 1DA25592
	buffer_load_dword v68, s[20:23], 0 offen lds               // 000000003A84: E0511000 80050044
	s_add_u32 m0, 0x500, s48                                   // 000000003A8C: 807C30FF 00000500
	v_mfma_f32_16x16x32_fp8_fp8 v[104:107], a[148:149], a[44:45], v[104:107]// 000000003A94: D3F30068 1DA25994
	v_mfma_f32_16x16x32_fp8_fp8 v[104:107], a[150:151], a[46:47], v[104:107]// 000000003A9C: D3F30068 1DA25D96
	buffer_load_dword v69, s[20:23], 0 offen lds               // 000000003AA4: E0511000 80050045
	s_add_u32 m0, 0x600, s48                                   // 000000003AAC: 807C30FF 00000600
	v_mfma_f32_16x16x32_fp8_fp8 v[108:111], a[144:145], a[48:49], v[108:111]// 000000003AB4: D3F3006C 1DB26190
	v_mfma_f32_16x16x32_fp8_fp8 v[108:111], a[146:147], a[50:51], v[108:111]// 000000003ABC: D3F3006C 1DB26592
	buffer_load_dword v70, s[20:23], 0 offen lds               // 000000003AC4: E0511000 80050046
	s_add_u32 m0, 0x700, s48                                   // 000000003ACC: 807C30FF 00000700
	v_mfma_f32_16x16x32_fp8_fp8 v[108:111], a[148:149], a[52:53], v[108:111]// 000000003AD4: D3F3006C 1DB26994
	v_mfma_f32_16x16x32_fp8_fp8 v[108:111], a[150:151], a[54:55], v[108:111]// 000000003ADC: D3F3006C 1DB26D96
	buffer_load_dword v71, s[20:23], 0 offen lds               // 000000003AE4: E0511000 80050047
	s_add_u32 m0, 0x800, s48                                   // 000000003AEC: 807C30FF 00000800
	v_mfma_f32_16x16x32_fp8_fp8 v[112:115], a[144:145], a[56:57], v[112:115]// 000000003AF4: D3F30070 1DC27190
	v_mfma_f32_16x16x32_fp8_fp8 v[112:115], a[146:147], a[58:59], v[112:115]// 000000003AFC: D3F30070 1DC27592
	buffer_load_dword v72, s[20:23], 0 offen lds               // 000000003B04: E0511000 80050048
	s_add_u32 m0, 0x900, s48                                   // 000000003B0C: 807C30FF 00000900
	v_mfma_f32_16x16x32_fp8_fp8 v[112:115], a[148:149], a[60:61], v[112:115]// 000000003B14: D3F30070 1DC27994
	v_mfma_f32_16x16x32_fp8_fp8 v[112:115], a[150:151], a[62:63], v[112:115]// 000000003B1C: D3F30070 1DC27D96
	buffer_load_dword v73, s[20:23], 0 offen lds               // 000000003B24: E0511000 80050049
	s_add_u32 m0, 0xa00, s48                                   // 000000003B2C: 807C30FF 00000A00
	v_mfma_f32_16x16x32_fp8_fp8 v[116:119], a[144:145], a[64:65], v[116:119]// 000000003B34: D3F30074 1DD28190
	v_mfma_f32_16x16x32_fp8_fp8 v[116:119], a[146:147], a[66:67], v[116:119]// 000000003B3C: D3F30074 1DD28592
	buffer_load_dword v74, s[20:23], 0 offen lds               // 000000003B44: E0511000 8005004A
	s_add_u32 m0, 0xb00, s48                                   // 000000003B4C: 807C30FF 00000B00
	v_mfma_f32_16x16x32_fp8_fp8 v[116:119], a[148:149], a[68:69], v[116:119]// 000000003B54: D3F30074 1DD28994
	v_mfma_f32_16x16x32_fp8_fp8 v[116:119], a[150:151], a[70:71], v[116:119]// 000000003B5C: D3F30074 1DD28D96
	buffer_load_dword v75, s[20:23], 0 offen lds               // 000000003B64: E0511000 8005004B
	s_add_u32 m0, 0xc00, s48                                   // 000000003B6C: 807C30FF 00000C00
	s_waitcnt vmcnt(16)                                        // 000000003B74: BF8C4F70
	v_mfma_f32_16x16x32_fp8_fp8 v[120:123], a[152:153], a[0:1], v[120:123]// 000000003B78: D3F30078 1DE20198
	v_mfma_f32_16x16x32_fp8_fp8 v[120:123], a[154:155], a[2:3], v[120:123]// 000000003B80: D3F30078 1DE2059A
	buffer_load_dword v76, s[20:23], 0 offen lds               // 000000003B88: E0511000 8005004C
	s_add_u32 m0, 0xd00, s48                                   // 000000003B90: 807C30FF 00000D00
	v_mfma_f32_16x16x32_fp8_fp8 v[120:123], a[156:157], a[4:5], v[120:123]// 000000003B98: D3F30078 1DE2099C
	v_mfma_f32_16x16x32_fp8_fp8 v[120:123], a[158:159], a[6:7], v[120:123]// 000000003BA0: D3F30078 1DE20D9E
	buffer_load_dword v77, s[20:23], 0 offen lds               // 000000003BA8: E0511000 8005004D
	s_add_u32 m0, 0xe00, s48                                   // 000000003BB0: 807C30FF 00000E00
	v_mfma_f32_16x16x32_fp8_fp8 v[124:127], a[152:153], a[8:9], v[124:127]// 000000003BB8: D3F3007C 1DF21198
	v_mfma_f32_16x16x32_fp8_fp8 v[124:127], a[154:155], a[10:11], v[124:127]// 000000003BC0: D3F3007C 1DF2159A
	buffer_load_dword v78, s[20:23], 0 offen lds               // 000000003BC8: E0511000 8005004E
	s_add_u32 m0, 0xf00, s48                                   // 000000003BD0: 807C30FF 00000F00
	v_mfma_f32_16x16x32_fp8_fp8 v[124:127], a[156:157], a[12:13], v[124:127]// 000000003BD8: D3F3007C 1DF2199C
	v_mfma_f32_16x16x32_fp8_fp8 v[124:127], a[158:159], a[14:15], v[124:127]// 000000003BE0: D3F3007C 1DF21D9E
	buffer_load_dword v79, s[20:23], 0 offen lds               // 000000003BE8: E0511000 8005004F
	s_add_u32 m0, 0x1000, s48                                  // 000000003BF0: 807C30FF 00001000
	v_mfma_f32_16x16x32_fp8_fp8 v[128:131], a[152:153], a[16:17], v[128:131]// 000000003BF8: D3F30080 1E022198
	v_mfma_f32_16x16x32_fp8_fp8 v[128:131], a[154:155], a[18:19], v[128:131]// 000000003C00: D3F30080 1E02259A
	buffer_load_dword v80, s[20:23], 0 offen lds               // 000000003C08: E0511000 80050050
	s_add_u32 m0, 0x1100, s48                                  // 000000003C10: 807C30FF 00001100
	v_mfma_f32_16x16x32_fp8_fp8 v[128:131], a[156:157], a[20:21], v[128:131]// 000000003C18: D3F30080 1E02299C
	v_mfma_f32_16x16x32_fp8_fp8 v[128:131], a[158:159], a[22:23], v[128:131]// 000000003C20: D3F30080 1E022D9E
	buffer_load_dword v81, s[20:23], 0 offen lds               // 000000003C28: E0511000 80050051
	s_add_u32 m0, 0, s49                                       // 000000003C30: 807C3180
	v_mfma_f32_16x16x32_fp8_fp8 v[132:135], a[152:153], a[24:25], v[132:135]// 000000003C34: D3F30084 1E123198
	v_mfma_f32_16x16x32_fp8_fp8 v[132:135], a[154:155], a[26:27], v[132:135]// 000000003C3C: D3F30084 1E12359A
	v_mfma_f32_16x16x32_fp8_fp8 v[132:135], a[156:157], a[28:29], v[132:135]// 000000003C44: D3F30084 1E12399C
	v_mfma_f32_16x16x32_fp8_fp8 v[132:135], a[158:159], a[30:31], v[132:135]// 000000003C4C: D3F30084 1E123D9E
	v_mfma_f32_16x16x32_fp8_fp8 v[136:139], a[152:153], a[32:33], v[136:139]// 000000003C54: D3F30088 1E224198
	v_mfma_f32_16x16x32_fp8_fp8 v[136:139], a[154:155], a[34:35], v[136:139]// 000000003C5C: D3F30088 1E22459A
	v_mfma_f32_16x16x32_fp8_fp8 v[136:139], a[156:157], a[36:37], v[136:139]// 000000003C64: D3F30088 1E22499C
	v_mfma_f32_16x16x32_fp8_fp8 v[136:139], a[158:159], a[38:39], v[136:139]// 000000003C6C: D3F30088 1E224D9E
	v_mfma_f32_16x16x32_fp8_fp8 v[140:143], a[152:153], a[40:41], v[140:143]// 000000003C74: D3F3008C 1E325198
	v_mfma_f32_16x16x32_fp8_fp8 v[140:143], a[154:155], a[42:43], v[140:143]// 000000003C7C: D3F3008C 1E32559A
	v_mfma_f32_16x16x32_fp8_fp8 v[140:143], a[156:157], a[44:45], v[140:143]// 000000003C84: D3F3008C 1E32599C
	v_mfma_f32_16x16x32_fp8_fp8 v[140:143], a[158:159], a[46:47], v[140:143]// 000000003C8C: D3F3008C 1E325D9E
	v_mfma_f32_16x16x32_fp8_fp8 v[144:147], a[152:153], a[48:49], v[144:147]// 000000003C94: D3F30090 1E426198
	v_mfma_f32_16x16x32_fp8_fp8 v[144:147], a[154:155], a[50:51], v[144:147]// 000000003C9C: D3F30090 1E42659A
	v_mfma_f32_16x16x32_fp8_fp8 v[144:147], a[156:157], a[52:53], v[144:147]// 000000003CA4: D3F30090 1E42699C
	v_mfma_f32_16x16x32_fp8_fp8 v[144:147], a[158:159], a[54:55], v[144:147]// 000000003CAC: D3F30090 1E426D9E
	v_mfma_f32_16x16x32_fp8_fp8 v[148:151], a[152:153], a[56:57], v[148:151]// 000000003CB4: D3F30094 1E527198
	v_mfma_f32_16x16x32_fp8_fp8 v[148:151], a[154:155], a[58:59], v[148:151]// 000000003CBC: D3F30094 1E52759A
	v_mfma_f32_16x16x32_fp8_fp8 v[148:151], a[156:157], a[60:61], v[148:151]// 000000003CC4: D3F30094 1E52799C
	v_mfma_f32_16x16x32_fp8_fp8 v[148:151], a[158:159], a[62:63], v[148:151]// 000000003CCC: D3F30094 1E527D9E
	v_mfma_f32_16x16x32_fp8_fp8 v[152:155], a[152:153], a[64:65], v[152:155]// 000000003CD4: D3F30098 1E628198
	v_mfma_f32_16x16x32_fp8_fp8 v[152:155], a[154:155], a[66:67], v[152:155]// 000000003CDC: D3F30098 1E62859A
	s_add_u32 s60, 0x80, s80                                   // 000000003CE4: 803C50FF 00000080
	s_cmp_lt_u32 s60, s81                                      // 000000003CEC: BF0A513C
	s_cselect_b32 s83, s83, 0                                  // 000000003CF0: 85538053
	v_mfma_f32_16x16x32_fp8_fp8 v[152:155], a[156:157], a[68:69], v[152:155]// 000000003CF4: D3F30098 1E62899C
	v_mfma_f32_16x16x32_fp8_fp8 v[152:155], a[158:159], a[70:71], v[152:155]// 000000003CFC: D3F30098 1E628D9E
	s_waitcnt vmcnt(18)                                        // 000000003D04: BF8C4F72
	v_mfma_f32_16x16x32_fp8_fp8 v[156:159], a[160:161], a[0:1], v[156:159]// 000000003D08: D3F3009C 1E7201A0
	v_mfma_f32_16x16x32_fp8_fp8 v[156:159], a[162:163], a[2:3], v[156:159]// 000000003D10: D3F3009C 1E7205A2
	buffer_load_dwordx4 a[144:147], v82, s[24:27], 0 offen     // 000000003D18: E05C1000 80869052
	v_mfma_f32_16x16x32_fp8_fp8 v[156:159], a[164:165], a[4:5], v[156:159]// 000000003D20: D3F3009C 1E7209A4
	v_mfma_f32_16x16x32_fp8_fp8 v[156:159], a[166:167], a[6:7], v[156:159]// 000000003D28: D3F3009C 1E720DA6
	ds_read_b128 a[72:75], v2 offset:18560                     // 000000003D30: DBFE4880 48000002
	ds_read_b128 a[76:79], v2 offset:18624                     // 000000003D38: DBFE48C0 4C000002
	v_mfma_f32_16x16x32_fp8_fp8 v[192:195], a[168:169], a[0:1], v[192:195]// 000000003D40: D3F300C0 1F0201A8
	v_mfma_f32_16x16x32_fp8_fp8 v[192:195], a[170:171], a[2:3], v[192:195]// 000000003D48: D3F300C0 1F0205AA
	buffer_load_dwordx4 a[148:151], v82, s[24:27], 0 offen offset:1024// 000000003D50: E05C1400 80869452
	v_mfma_f32_16x16x32_fp8_fp8 v[192:195], a[172:173], a[4:5], v[192:195]// 000000003D58: D3F300C0 1F0209AC
	v_mfma_f32_16x16x32_fp8_fp8 v[192:195], a[174:175], a[6:7], v[192:195]// 000000003D60: D3F300C0 1F020DAE
	ds_read_b128 a[80:83], v2 offset:19072                     // 000000003D68: DBFE4A80 50000002
	ds_read_b128 a[84:87], v2 offset:19136                     // 000000003D70: DBFE4AC0 54000002
	v_mfma_f32_16x16x32_fp8_fp8 v[160:163], a[160:161], a[8:9], v[160:163]// 000000003D78: D3F300A0 1E8211A0
	v_mfma_f32_16x16x32_fp8_fp8 v[160:163], a[162:163], a[10:11], v[160:163]// 000000003D80: D3F300A0 1E8215A2
	buffer_load_dwordx4 a[152:155], v83, s[24:27], 0 offen     // 000000003D88: E05C1000 80869853
	v_mfma_f32_16x16x32_fp8_fp8 v[160:163], a[164:165], a[12:13], v[160:163]// 000000003D90: D3F300A0 1E8219A4
	v_mfma_f32_16x16x32_fp8_fp8 v[160:163], a[166:167], a[14:15], v[160:163]// 000000003D98: D3F300A0 1E821DA6
	ds_read_b128 a[88:91], v2 offset:19584                     // 000000003DA0: DBFE4C80 58000002
	ds_read_b128 a[92:95], v2 offset:19648                     // 000000003DA8: DBFE4CC0 5C000002
	v_mfma_f32_16x16x32_fp8_fp8 v[196:199], a[168:169], a[8:9], v[196:199]// 000000003DB0: D3F300C4 1F1211A8
	v_mfma_f32_16x16x32_fp8_fp8 v[196:199], a[170:171], a[10:11], v[196:199]// 000000003DB8: D3F300C4 1F1215AA
	buffer_load_dwordx4 a[156:159], v83, s[24:27], 0 offen offset:1024// 000000003DC0: E05C1400 80869C53
	v_mfma_f32_16x16x32_fp8_fp8 v[196:199], a[172:173], a[12:13], v[196:199]// 000000003DC8: D3F300C4 1F1219AC
	v_mfma_f32_16x16x32_fp8_fp8 v[196:199], a[174:175], a[14:15], v[196:199]// 000000003DD0: D3F300C4 1F121DAE
	ds_read_b128 a[96:99], v2 offset:20096                     // 000000003DD8: DBFE4E80 60000002
	ds_read_b128 a[100:103], v2 offset:20160                   // 000000003DE0: DBFE4EC0 64000002
	v_mfma_f32_16x16x32_fp8_fp8 v[164:167], a[160:161], a[16:17], v[164:167]// 000000003DE8: D3F300A4 1E9221A0
	v_mfma_f32_16x16x32_fp8_fp8 v[164:167], a[162:163], a[18:19], v[164:167]// 000000003DF0: D3F300A4 1E9225A2
	v_mfma_f32_16x16x32_fp8_fp8 v[164:167], a[164:165], a[20:21], v[164:167]// 000000003DF8: D3F300A4 1E9229A4
	v_mfma_f32_16x16x32_fp8_fp8 v[164:167], a[166:167], a[22:23], v[164:167]// 000000003E00: D3F300A4 1E922DA6
	ds_read_b128 a[104:107], v2 offset:20608                   // 000000003E08: DBFE5080 68000002
	ds_read_b128 a[108:111], v2 offset:20672                   // 000000003E10: DBFE50C0 6C000002
	v_mfma_f32_16x16x32_fp8_fp8 v[200:203], a[168:169], a[16:17], v[200:203]// 000000003E18: D3F300C8 1F2221A8
	v_mfma_f32_16x16x32_fp8_fp8 v[200:203], a[170:171], a[18:19], v[200:203]// 000000003E20: D3F300C8 1F2225AA
	v_mfma_f32_16x16x32_fp8_fp8 v[200:203], a[172:173], a[20:21], v[200:203]// 000000003E28: D3F300C8 1F2229AC
	v_mfma_f32_16x16x32_fp8_fp8 v[200:203], a[174:175], a[22:23], v[200:203]// 000000003E30: D3F300C8 1F222DAE
	ds_read_b128 a[112:115], v2 offset:21120                   // 000000003E38: DBFE5280 70000002
	ds_read_b128 a[116:119], v2 offset:21184                   // 000000003E40: DBFE52C0 74000002
	v_mfma_f32_16x16x32_fp8_fp8 v[168:171], a[160:161], a[24:25], v[168:171]// 000000003E48: D3F300A8 1EA231A0
	v_mfma_f32_16x16x32_fp8_fp8 v[168:171], a[162:163], a[26:27], v[168:171]// 000000003E50: D3F300A8 1EA235A2
	v_mfma_f32_16x16x32_fp8_fp8 v[168:171], a[164:165], a[28:29], v[168:171]// 000000003E58: D3F300A8 1EA239A4
	v_mfma_f32_16x16x32_fp8_fp8 v[168:171], a[166:167], a[30:31], v[168:171]// 000000003E60: D3F300A8 1EA23DA6
	ds_read_b128 a[120:123], v2 offset:21632                   // 000000003E68: DBFE5480 78000002
	ds_read_b128 a[124:127], v2 offset:21696                   // 000000003E70: DBFE54C0 7C000002
	v_mfma_f32_16x16x32_fp8_fp8 v[204:207], a[168:169], a[24:25], v[204:207]// 000000003E78: D3F300CC 1F3231A8
	v_mfma_f32_16x16x32_fp8_fp8 v[204:207], a[170:171], a[26:27], v[204:207]// 000000003E80: D3F300CC 1F3235AA
	v_mfma_f32_16x16x32_fp8_fp8 v[204:207], a[172:173], a[28:29], v[204:207]// 000000003E88: D3F300CC 1F3239AC
	v_mfma_f32_16x16x32_fp8_fp8 v[204:207], a[174:175], a[30:31], v[204:207]// 000000003E90: D3F300CC 1F323DAE
	ds_read_b128 a[128:131], v2 offset:22144                   // 000000003E98: DBFE5680 80000002
	ds_read_b128 a[132:135], v2 offset:22208                   // 000000003EA0: DBFE56C0 84000002
	v_mfma_f32_16x16x32_fp8_fp8 v[172:175], a[160:161], a[32:33], v[172:175]// 000000003EA8: D3F300AC 1EB241A0
	v_mfma_f32_16x16x32_fp8_fp8 v[172:175], a[162:163], a[34:35], v[172:175]// 000000003EB0: D3F300AC 1EB245A2
	v_mfma_f32_16x16x32_fp8_fp8 v[172:175], a[164:165], a[36:37], v[172:175]// 000000003EB8: D3F300AC 1EB249A4
	v_mfma_f32_16x16x32_fp8_fp8 v[172:175], a[166:167], a[38:39], v[172:175]// 000000003EC0: D3F300AC 1EB24DA6
	ds_read_b128 a[136:139], v2 offset:22656                   // 000000003EC8: DBFE5880 88000002
	ds_read_b128 a[140:143], v2 offset:22720                   // 000000003ED0: DBFE58C0 8C000002
	v_mfma_f32_16x16x32_fp8_fp8 v[208:211], a[168:169], a[32:33], v[208:211]// 000000003ED8: D3F300D0 1F4241A8
	v_mfma_f32_16x16x32_fp8_fp8 v[208:211], a[170:171], a[34:35], v[208:211]// 000000003EE0: D3F300D0 1F4245AA
	v_mfma_f32_16x16x32_fp8_fp8 v[208:211], a[172:173], a[36:37], v[208:211]// 000000003EE8: D3F300D0 1F4249AC
	v_mfma_f32_16x16x32_fp8_fp8 v[208:211], a[174:175], a[38:39], v[208:211]// 000000003EF0: D3F300D0 1F424DAE
	v_mfma_f32_16x16x32_fp8_fp8 v[176:179], a[160:161], a[40:41], v[176:179]// 000000003EF8: D3F300B0 1EC251A0
	v_mfma_f32_16x16x32_fp8_fp8 v[176:179], a[162:163], a[42:43], v[176:179]// 000000003F00: D3F300B0 1EC255A2
	v_mfma_f32_16x16x32_fp8_fp8 v[176:179], a[164:165], a[44:45], v[176:179]// 000000003F08: D3F300B0 1EC259A4
	v_mfma_f32_16x16x32_fp8_fp8 v[176:179], a[166:167], a[46:47], v[176:179]// 000000003F10: D3F300B0 1EC25DA6
	v_mfma_f32_16x16x32_fp8_fp8 v[212:215], a[168:169], a[40:41], v[212:215]// 000000003F18: D3F300D4 1F5251A8
	v_mfma_f32_16x16x32_fp8_fp8 v[212:215], a[170:171], a[42:43], v[212:215]// 000000003F20: D3F300D4 1F5255AA
	v_mfma_f32_16x16x32_fp8_fp8 v[212:215], a[172:173], a[44:45], v[212:215]// 000000003F28: D3F300D4 1F5259AC
	v_mfma_f32_16x16x32_fp8_fp8 v[212:215], a[174:175], a[46:47], v[212:215]// 000000003F30: D3F300D4 1F525DAE
	v_mfma_f32_16x16x32_fp8_fp8 v[180:183], a[160:161], a[48:49], v[180:183]// 000000003F38: D3F300B4 1ED261A0
	v_mfma_f32_16x16x32_fp8_fp8 v[180:183], a[162:163], a[50:51], v[180:183]// 000000003F40: D3F300B4 1ED265A2
	v_mfma_f32_16x16x32_fp8_fp8 v[180:183], a[164:165], a[52:53], v[180:183]// 000000003F48: D3F300B4 1ED269A4
	v_mfma_f32_16x16x32_fp8_fp8 v[180:183], a[166:167], a[54:55], v[180:183]// 000000003F50: D3F300B4 1ED26DA6
	v_mfma_f32_16x16x32_fp8_fp8 v[216:219], a[168:169], a[48:49], v[216:219]// 000000003F58: D3F300D8 1F6261A8
	v_mfma_f32_16x16x32_fp8_fp8 v[216:219], a[170:171], a[50:51], v[216:219]// 000000003F60: D3F300D8 1F6265AA
	v_mfma_f32_16x16x32_fp8_fp8 v[216:219], a[172:173], a[52:53], v[216:219]// 000000003F68: D3F300D8 1F6269AC
	v_mfma_f32_16x16x32_fp8_fp8 v[216:219], a[174:175], a[54:55], v[216:219]// 000000003F70: D3F300D8 1F626DAE
	v_mfma_f32_16x16x32_fp8_fp8 v[184:187], a[160:161], a[56:57], v[184:187]// 000000003F78: D3F300B8 1EE271A0
	v_mfma_f32_16x16x32_fp8_fp8 v[184:187], a[162:163], a[58:59], v[184:187]// 000000003F80: D3F300B8 1EE275A2
	v_mfma_f32_16x16x32_fp8_fp8 v[184:187], a[164:165], a[60:61], v[184:187]// 000000003F88: D3F300B8 1EE279A4
	v_mfma_f32_16x16x32_fp8_fp8 v[184:187], a[166:167], a[62:63], v[184:187]// 000000003F90: D3F300B8 1EE27DA6
	v_mfma_f32_16x16x32_fp8_fp8 v[220:223], a[168:169], a[56:57], v[220:223]// 000000003F98: D3F300DC 1F7271A8
	v_mfma_f32_16x16x32_fp8_fp8 v[220:223], a[170:171], a[58:59], v[220:223]// 000000003FA0: D3F300DC 1F7275AA
	v_mfma_f32_16x16x32_fp8_fp8 v[220:223], a[172:173], a[60:61], v[220:223]// 000000003FA8: D3F300DC 1F7279AC
	v_mfma_f32_16x16x32_fp8_fp8 v[220:223], a[174:175], a[62:63], v[220:223]// 000000003FB0: D3F300DC 1F727DAE
	v_mfma_f32_16x16x32_fp8_fp8 v[188:191], a[160:161], a[64:65], v[188:191]// 000000003FB8: D3F300BC 1EF281A0
	v_mfma_f32_16x16x32_fp8_fp8 v[188:191], a[162:163], a[66:67], v[188:191]// 000000003FC0: D3F300BC 1EF285A2
	v_mfma_f32_16x16x32_fp8_fp8 v[188:191], a[164:165], a[68:69], v[188:191]// 000000003FC8: D3F300BC 1EF289A4
	s_add_u32 s60, 0x180, s80                                  // 000000003FD0: 803C50FF 00000180
	s_cmp_lt_u32 s60, s81                                      // 000000003FD8: BF0A513C
	s_cselect_b32 s57, s57, 0                                  // 000000003FDC: 85398039
	v_mfma_f32_16x16x32_fp8_fp8 v[188:191], a[166:167], a[70:71], v[188:191]// 000000003FE0: D3F300BC 1EF28DA6
	s_add_u32 s60, 0x100, s80                                  // 000000003FE8: 803C50FF 00000100
	s_cmp_lt_u32 s60, s81                                      // 000000003FF0: BF0A513C
	s_cselect_b32 s58, s58, 0                                  // 000000003FF4: 853A803A
	v_mfma_f32_16x16x32_fp8_fp8 v[224:227], a[168:169], a[64:65], v[224:227]// 000000003FF8: D3F300E0 1F8281A8
	s_add_u32 s24, s58, s24                                    // 000000004000: 8018183A
	s_addc_u32 s25, 0, s25                                     // 000000004004: 82191980
	v_mfma_f32_16x16x32_fp8_fp8 v[224:227], a[170:171], a[66:67], v[224:227]// 000000004008: D3F300E0 1F8285AA
	s_add_u32 s20, s57, s20                                    // 000000004010: 80141439
	s_addc_u32 s21, 0, s21                                     // 000000004014: 82151580
	v_mfma_f32_16x16x32_fp8_fp8 v[224:227], a[172:173], a[68:69], v[224:227]// 000000004018: D3F300E0 1F8289AC
	s_add_u32 s84, s83, s84                                    // 000000004020: 80545453
	s_addc_u32 s85, 0, s85                                     // 000000004024: 82555580
	v_mfma_f32_16x16x32_fp8_fp8 v[224:227], a[174:175], a[70:71], v[224:227]// 000000004028: D3F300E0 1F828DAE
	s_addk_i32 s80, 0x80                                       // 000000004030: B7500080
	s_cmp_lt_i32 s80, s81                                      // 000000004034: BF045150
	s_cbranch_scc0 label_0744                                  // 000000004038: BF8401B5
	s_waitcnt vmcnt(2) lgkmcnt(0)                              // 00000000403C: BF8C0072
	s_barrier                                                  // 000000004040: BF8A0000
	v_mfma_f32_16x16x32_fp8_fp8 v[84:87], a[144:145], a[72:73], v[84:87]// 000000004044: D3F30054 1D529190
	v_mfma_f32_16x16x32_fp8_fp8 v[84:87], a[146:147], a[74:75], v[84:87]// 00000000404C: D3F30054 1D529592
	buffer_load_dwordx4 a[160:163], v82, s[84:87], 0 offen     // 000000004054: E05C1000 8095A052
	v_mfma_f32_16x16x32_fp8_fp8 v[84:87], a[148:149], a[76:77], v[84:87]// 00000000405C: D3F30054 1D529994
	v_mfma_f32_16x16x32_fp8_fp8 v[84:87], a[150:151], a[78:79], v[84:87]// 000000004064: D3F30054 1D529D96
	v_mfma_f32_16x16x32_fp8_fp8 v[88:91], a[144:145], a[80:81], v[88:91]// 00000000406C: D3F30058 1D62A190
	v_mfma_f32_16x16x32_fp8_fp8 v[88:91], a[146:147], a[82:83], v[88:91]// 000000004074: D3F30058 1D62A592
	buffer_load_dwordx4 a[164:167], v82, s[84:87], 0 offen offset:1024// 00000000407C: E05C1400 8095A452
	v_mfma_f32_16x16x32_fp8_fp8 v[88:91], a[148:149], a[84:85], v[88:91]// 000000004084: D3F30058 1D62A994
	v_mfma_f32_16x16x32_fp8_fp8 v[88:91], a[150:151], a[86:87], v[88:91]// 00000000408C: D3F30058 1D62AD96
	v_mfma_f32_16x16x32_fp8_fp8 v[92:95], a[144:145], a[88:89], v[92:95]// 000000004094: D3F3005C 1D72B190
	v_mfma_f32_16x16x32_fp8_fp8 v[92:95], a[146:147], a[90:91], v[92:95]// 00000000409C: D3F3005C 1D72B592
	buffer_load_dwordx4 a[168:171], v83, s[84:87], 0 offen     // 0000000040A4: E05C1000 8095A853
	v_mfma_f32_16x16x32_fp8_fp8 v[92:95], a[148:149], a[92:93], v[92:95]// 0000000040AC: D3F3005C 1D72B994
	v_mfma_f32_16x16x32_fp8_fp8 v[92:95], a[150:151], a[94:95], v[92:95]// 0000000040B4: D3F3005C 1D72BD96
	v_mfma_f32_16x16x32_fp8_fp8 v[96:99], a[144:145], a[96:97], v[96:99]// 0000000040BC: D3F30060 1D82C190
	v_mfma_f32_16x16x32_fp8_fp8 v[96:99], a[146:147], a[98:99], v[96:99]// 0000000040C4: D3F30060 1D82C592
	buffer_load_dwordx4 a[172:175], v83, s[84:87], 0 offen offset:1024// 0000000040CC: E05C1400 8095AC53
	buffer_load_dword v64, s[20:23], 0 offen lds               // 0000000040D4: E0511000 80050040
	s_add_u32 m0, 0x100, s49                                   // 0000000040DC: 807C31FF 00000100
	v_mfma_f32_16x16x32_fp8_fp8 v[96:99], a[148:149], a[100:101], v[96:99]// 0000000040E4: D3F30060 1D82C994
	v_mfma_f32_16x16x32_fp8_fp8 v[96:99], a[150:151], a[102:103], v[96:99]// 0000000040EC: D3F30060 1D82CD96
	buffer_load_dword v65, s[20:23], 0 offen lds               // 0000000040F4: E0511000 80050041
	s_add_u32 m0, 0x200, s49                                   // 0000000040FC: 807C31FF 00000200
	v_mfma_f32_16x16x32_fp8_fp8 v[100:103], a[144:145], a[104:105], v[100:103]// 000000004104: D3F30064 1D92D190
	v_mfma_f32_16x16x32_fp8_fp8 v[100:103], a[146:147], a[106:107], v[100:103]// 00000000410C: D3F30064 1D92D592
	buffer_load_dword v66, s[20:23], 0 offen lds               // 000000004114: E0511000 80050042
	s_add_u32 m0, 0x300, s49                                   // 00000000411C: 807C31FF 00000300
	v_mfma_f32_16x16x32_fp8_fp8 v[100:103], a[148:149], a[108:109], v[100:103]// 000000004124: D3F30064 1D92D994
	v_mfma_f32_16x16x32_fp8_fp8 v[100:103], a[150:151], a[110:111], v[100:103]// 00000000412C: D3F30064 1D92DD96
	buffer_load_dword v67, s[20:23], 0 offen lds               // 000000004134: E0511000 80050043
	s_add_u32 m0, 0x400, s49                                   // 00000000413C: 807C31FF 00000400
	v_mfma_f32_16x16x32_fp8_fp8 v[104:107], a[144:145], a[112:113], v[104:107]// 000000004144: D3F30068 1DA2E190
	v_mfma_f32_16x16x32_fp8_fp8 v[104:107], a[146:147], a[114:115], v[104:107]// 00000000414C: D3F30068 1DA2E592
	buffer_load_dword v68, s[20:23], 0 offen lds               // 000000004154: E0511000 80050044
	s_add_u32 m0, 0x500, s49                                   // 00000000415C: 807C31FF 00000500
	v_mfma_f32_16x16x32_fp8_fp8 v[104:107], a[148:149], a[116:117], v[104:107]// 000000004164: D3F30068 1DA2E994
	v_mfma_f32_16x16x32_fp8_fp8 v[104:107], a[150:151], a[118:119], v[104:107]// 00000000416C: D3F30068 1DA2ED96
	buffer_load_dword v69, s[20:23], 0 offen lds               // 000000004174: E0511000 80050045
	s_add_u32 m0, 0x600, s49                                   // 00000000417C: 807C31FF 00000600
	v_mfma_f32_16x16x32_fp8_fp8 v[108:111], a[144:145], a[120:121], v[108:111]// 000000004184: D3F3006C 1DB2F190
	v_mfma_f32_16x16x32_fp8_fp8 v[108:111], a[146:147], a[122:123], v[108:111]// 00000000418C: D3F3006C 1DB2F592
	buffer_load_dword v70, s[20:23], 0 offen lds               // 000000004194: E0511000 80050046
	s_add_u32 m0, 0x700, s49                                   // 00000000419C: 807C31FF 00000700
	v_mfma_f32_16x16x32_fp8_fp8 v[108:111], a[148:149], a[124:125], v[108:111]// 0000000041A4: D3F3006C 1DB2F994
	v_mfma_f32_16x16x32_fp8_fp8 v[108:111], a[150:151], a[126:127], v[108:111]// 0000000041AC: D3F3006C 1DB2FD96
	buffer_load_dword v71, s[20:23], 0 offen lds               // 0000000041B4: E0511000 80050047
	s_add_u32 m0, 0x800, s49                                   // 0000000041BC: 807C31FF 00000800
	v_mfma_f32_16x16x32_fp8_fp8 v[112:115], a[144:145], a[128:129], v[112:115]// 0000000041C4: D3F30070 1DC30190
	v_mfma_f32_16x16x32_fp8_fp8 v[112:115], a[146:147], a[130:131], v[112:115]// 0000000041CC: D3F30070 1DC30592
	buffer_load_dword v72, s[20:23], 0 offen lds               // 0000000041D4: E0511000 80050048
	s_add_u32 m0, 0x900, s49                                   // 0000000041DC: 807C31FF 00000900
	v_mfma_f32_16x16x32_fp8_fp8 v[112:115], a[148:149], a[132:133], v[112:115]// 0000000041E4: D3F30070 1DC30994
	v_mfma_f32_16x16x32_fp8_fp8 v[112:115], a[150:151], a[134:135], v[112:115]// 0000000041EC: D3F30070 1DC30D96
	buffer_load_dword v73, s[20:23], 0 offen lds               // 0000000041F4: E0511000 80050049
	s_add_u32 m0, 0xa00, s49                                   // 0000000041FC: 807C31FF 00000A00
	v_mfma_f32_16x16x32_fp8_fp8 v[116:119], a[144:145], a[136:137], v[116:119]// 000000004204: D3F30074 1DD31190
	v_mfma_f32_16x16x32_fp8_fp8 v[116:119], a[146:147], a[138:139], v[116:119]// 00000000420C: D3F30074 1DD31592
	buffer_load_dword v74, s[20:23], 0 offen lds               // 000000004214: E0511000 8005004A
	s_add_u32 m0, 0xb00, s49                                   // 00000000421C: 807C31FF 00000B00
	v_mfma_f32_16x16x32_fp8_fp8 v[116:119], a[148:149], a[140:141], v[116:119]// 000000004224: D3F30074 1DD31994
	v_mfma_f32_16x16x32_fp8_fp8 v[116:119], a[150:151], a[142:143], v[116:119]// 00000000422C: D3F30074 1DD31D96
	buffer_load_dword v75, s[20:23], 0 offen lds               // 000000004234: E0511000 8005004B
	s_add_u32 m0, 0xc00, s49                                   // 00000000423C: 807C31FF 00000C00
	s_waitcnt vmcnt(16)                                        // 000000004244: BF8C4F70
	v_mfma_f32_16x16x32_fp8_fp8 v[120:123], a[152:153], a[72:73], v[120:123]// 000000004248: D3F30078 1DE29198
	v_mfma_f32_16x16x32_fp8_fp8 v[120:123], a[154:155], a[74:75], v[120:123]// 000000004250: D3F30078 1DE2959A
	buffer_load_dword v76, s[20:23], 0 offen lds               // 000000004258: E0511000 8005004C
	s_add_u32 m0, 0xd00, s49                                   // 000000004260: 807C31FF 00000D00
	v_mfma_f32_16x16x32_fp8_fp8 v[120:123], a[156:157], a[76:77], v[120:123]// 000000004268: D3F30078 1DE2999C
	v_mfma_f32_16x16x32_fp8_fp8 v[120:123], a[158:159], a[78:79], v[120:123]// 000000004270: D3F30078 1DE29D9E
	buffer_load_dword v77, s[20:23], 0 offen lds               // 000000004278: E0511000 8005004D
	s_add_u32 m0, 0xe00, s49                                   // 000000004280: 807C31FF 00000E00
	v_mfma_f32_16x16x32_fp8_fp8 v[124:127], a[152:153], a[80:81], v[124:127]// 000000004288: D3F3007C 1DF2A198
	v_mfma_f32_16x16x32_fp8_fp8 v[124:127], a[154:155], a[82:83], v[124:127]// 000000004290: D3F3007C 1DF2A59A
	buffer_load_dword v78, s[20:23], 0 offen lds               // 000000004298: E0511000 8005004E
	s_add_u32 m0, 0xf00, s49                                   // 0000000042A0: 807C31FF 00000F00
	v_mfma_f32_16x16x32_fp8_fp8 v[124:127], a[156:157], a[84:85], v[124:127]// 0000000042A8: D3F3007C 1DF2A99C
	v_mfma_f32_16x16x32_fp8_fp8 v[124:127], a[158:159], a[86:87], v[124:127]// 0000000042B0: D3F3007C 1DF2AD9E
	buffer_load_dword v79, s[20:23], 0 offen lds               // 0000000042B8: E0511000 8005004F
	s_add_u32 m0, 0x1000, s49                                  // 0000000042C0: 807C31FF 00001000
	v_mfma_f32_16x16x32_fp8_fp8 v[128:131], a[152:153], a[88:89], v[128:131]// 0000000042C8: D3F30080 1E02B198
	v_mfma_f32_16x16x32_fp8_fp8 v[128:131], a[154:155], a[90:91], v[128:131]// 0000000042D0: D3F30080 1E02B59A
	buffer_load_dword v80, s[20:23], 0 offen lds               // 0000000042D8: E0511000 80050050
	s_add_u32 m0, 0x1100, s49                                  // 0000000042E0: 807C31FF 00001100
	v_mfma_f32_16x16x32_fp8_fp8 v[128:131], a[156:157], a[92:93], v[128:131]// 0000000042E8: D3F30080 1E02B99C
	v_mfma_f32_16x16x32_fp8_fp8 v[128:131], a[158:159], a[94:95], v[128:131]// 0000000042F0: D3F30080 1E02BD9E
	buffer_load_dword v81, s[20:23], 0 offen lds               // 0000000042F8: E0511000 80050051
	s_add_u32 m0, 0, s48                                       // 000000004300: 807C3080
	v_mfma_f32_16x16x32_fp8_fp8 v[132:135], a[152:153], a[96:97], v[132:135]// 000000004304: D3F30084 1E12C198
	v_mfma_f32_16x16x32_fp8_fp8 v[132:135], a[154:155], a[98:99], v[132:135]// 00000000430C: D3F30084 1E12C59A
	v_mfma_f32_16x16x32_fp8_fp8 v[132:135], a[156:157], a[100:101], v[132:135]// 000000004314: D3F30084 1E12C99C
	v_mfma_f32_16x16x32_fp8_fp8 v[132:135], a[158:159], a[102:103], v[132:135]// 00000000431C: D3F30084 1E12CD9E
	v_mfma_f32_16x16x32_fp8_fp8 v[136:139], a[152:153], a[104:105], v[136:139]// 000000004324: D3F30088 1E22D198
	v_mfma_f32_16x16x32_fp8_fp8 v[136:139], a[154:155], a[106:107], v[136:139]// 00000000432C: D3F30088 1E22D59A
	v_mfma_f32_16x16x32_fp8_fp8 v[136:139], a[156:157], a[108:109], v[136:139]// 000000004334: D3F30088 1E22D99C
	v_mfma_f32_16x16x32_fp8_fp8 v[136:139], a[158:159], a[110:111], v[136:139]// 00000000433C: D3F30088 1E22DD9E
	v_mfma_f32_16x16x32_fp8_fp8 v[140:143], a[152:153], a[112:113], v[140:143]// 000000004344: D3F3008C 1E32E198
	v_mfma_f32_16x16x32_fp8_fp8 v[140:143], a[154:155], a[114:115], v[140:143]// 00000000434C: D3F3008C 1E32E59A
	v_mfma_f32_16x16x32_fp8_fp8 v[140:143], a[156:157], a[116:117], v[140:143]// 000000004354: D3F3008C 1E32E99C
	v_mfma_f32_16x16x32_fp8_fp8 v[140:143], a[158:159], a[118:119], v[140:143]// 00000000435C: D3F3008C 1E32ED9E
	v_mfma_f32_16x16x32_fp8_fp8 v[144:147], a[152:153], a[120:121], v[144:147]// 000000004364: D3F30090 1E42F198
	v_mfma_f32_16x16x32_fp8_fp8 v[144:147], a[154:155], a[122:123], v[144:147]// 00000000436C: D3F30090 1E42F59A
	v_mfma_f32_16x16x32_fp8_fp8 v[144:147], a[156:157], a[124:125], v[144:147]// 000000004374: D3F30090 1E42F99C
	v_mfma_f32_16x16x32_fp8_fp8 v[144:147], a[158:159], a[126:127], v[144:147]// 00000000437C: D3F30090 1E42FD9E
	v_mfma_f32_16x16x32_fp8_fp8 v[148:151], a[152:153], a[128:129], v[148:151]// 000000004384: D3F30094 1E530198
	v_mfma_f32_16x16x32_fp8_fp8 v[148:151], a[154:155], a[130:131], v[148:151]// 00000000438C: D3F30094 1E53059A
	v_mfma_f32_16x16x32_fp8_fp8 v[148:151], a[156:157], a[132:133], v[148:151]// 000000004394: D3F30094 1E53099C
	v_mfma_f32_16x16x32_fp8_fp8 v[148:151], a[158:159], a[134:135], v[148:151]// 00000000439C: D3F30094 1E530D9E
	v_mfma_f32_16x16x32_fp8_fp8 v[152:155], a[152:153], a[136:137], v[152:155]// 0000000043A4: D3F30098 1E631198
	v_mfma_f32_16x16x32_fp8_fp8 v[152:155], a[154:155], a[138:139], v[152:155]// 0000000043AC: D3F30098 1E63159A
	s_add_u32 s60, 0x80, s80                                   // 0000000043B4: 803C50FF 00000080
	s_cmp_lt_u32 s60, s81                                      // 0000000043BC: BF0A513C
	s_cselect_b32 s83, s83, 0                                  // 0000000043C0: 85538053
	v_mfma_f32_16x16x32_fp8_fp8 v[152:155], a[156:157], a[140:141], v[152:155]// 0000000043C4: D3F30098 1E63199C
	v_mfma_f32_16x16x32_fp8_fp8 v[152:155], a[158:159], a[142:143], v[152:155]// 0000000043CC: D3F30098 1E631D9E
	s_waitcnt vmcnt(18)                                        // 0000000043D4: BF8C4F72
	v_mfma_f32_16x16x32_fp8_fp8 v[156:159], a[160:161], a[72:73], v[156:159]// 0000000043D8: D3F3009C 1E7291A0
	v_mfma_f32_16x16x32_fp8_fp8 v[156:159], a[162:163], a[74:75], v[156:159]// 0000000043E0: D3F3009C 1E7295A2
	buffer_load_dwordx4 a[144:147], v82, s[24:27], 0 offen     // 0000000043E8: E05C1000 80869052
	v_mfma_f32_16x16x32_fp8_fp8 v[156:159], a[164:165], a[76:77], v[156:159]// 0000000043F0: D3F3009C 1E7299A4
	v_mfma_f32_16x16x32_fp8_fp8 v[156:159], a[166:167], a[78:79], v[156:159]// 0000000043F8: D3F3009C 1E729DA6
	ds_read_b128 a[0:3], v2                                    // 000000004400: DBFE0000 00000002
	ds_read_b128 a[4:7], v2 offset:64                          // 000000004408: DBFE0040 04000002
	v_mfma_f32_16x16x32_fp8_fp8 v[192:195], a[168:169], a[72:73], v[192:195]// 000000004410: D3F300C0 1F0291A8
	v_mfma_f32_16x16x32_fp8_fp8 v[192:195], a[170:171], a[74:75], v[192:195]// 000000004418: D3F300C0 1F0295AA
	buffer_load_dwordx4 a[148:151], v82, s[24:27], 0 offen offset:1024// 000000004420: E05C1400 80869452
	v_mfma_f32_16x16x32_fp8_fp8 v[192:195], a[172:173], a[76:77], v[192:195]// 000000004428: D3F300C0 1F0299AC
	v_mfma_f32_16x16x32_fp8_fp8 v[192:195], a[174:175], a[78:79], v[192:195]// 000000004430: D3F300C0 1F029DAE
	ds_read_b128 a[8:11], v2 offset:512                        // 000000004438: DBFE0200 08000002
	ds_read_b128 a[12:15], v2 offset:576                       // 000000004440: DBFE0240 0C000002
	v_mfma_f32_16x16x32_fp8_fp8 v[160:163], a[160:161], a[80:81], v[160:163]// 000000004448: D3F300A0 1E82A1A0
	v_mfma_f32_16x16x32_fp8_fp8 v[160:163], a[162:163], a[82:83], v[160:163]// 000000004450: D3F300A0 1E82A5A2
	buffer_load_dwordx4 a[152:155], v83, s[24:27], 0 offen     // 000000004458: E05C1000 80869853
	v_mfma_f32_16x16x32_fp8_fp8 v[160:163], a[164:165], a[84:85], v[160:163]// 000000004460: D3F300A0 1E82A9A4
	v_mfma_f32_16x16x32_fp8_fp8 v[160:163], a[166:167], a[86:87], v[160:163]// 000000004468: D3F300A0 1E82ADA6
	ds_read_b128 a[16:19], v2 offset:1024                      // 000000004470: DBFE0400 10000002
	ds_read_b128 a[20:23], v2 offset:1088                      // 000000004478: DBFE0440 14000002
	v_mfma_f32_16x16x32_fp8_fp8 v[196:199], a[168:169], a[80:81], v[196:199]// 000000004480: D3F300C4 1F12A1A8
	v_mfma_f32_16x16x32_fp8_fp8 v[196:199], a[170:171], a[82:83], v[196:199]// 000000004488: D3F300C4 1F12A5AA
	buffer_load_dwordx4 a[156:159], v83, s[24:27], 0 offen offset:1024// 000000004490: E05C1400 80869C53
	v_mfma_f32_16x16x32_fp8_fp8 v[196:199], a[172:173], a[84:85], v[196:199]// 000000004498: D3F300C4 1F12A9AC
	v_mfma_f32_16x16x32_fp8_fp8 v[196:199], a[174:175], a[86:87], v[196:199]// 0000000044A0: D3F300C4 1F12ADAE
	ds_read_b128 a[24:27], v2 offset:1536                      // 0000000044A8: DBFE0600 18000002
	ds_read_b128 a[28:31], v2 offset:1600                      // 0000000044B0: DBFE0640 1C000002
	v_mfma_f32_16x16x32_fp8_fp8 v[164:167], a[160:161], a[88:89], v[164:167]// 0000000044B8: D3F300A4 1E92B1A0
	v_mfma_f32_16x16x32_fp8_fp8 v[164:167], a[162:163], a[90:91], v[164:167]// 0000000044C0: D3F300A4 1E92B5A2
	v_mfma_f32_16x16x32_fp8_fp8 v[164:167], a[164:165], a[92:93], v[164:167]// 0000000044C8: D3F300A4 1E92B9A4
	v_mfma_f32_16x16x32_fp8_fp8 v[164:167], a[166:167], a[94:95], v[164:167]// 0000000044D0: D3F300A4 1E92BDA6
	ds_read_b128 a[32:35], v2 offset:2048                      // 0000000044D8: DBFE0800 20000002
	ds_read_b128 a[36:39], v2 offset:2112                      // 0000000044E0: DBFE0840 24000002
	v_mfma_f32_16x16x32_fp8_fp8 v[200:203], a[168:169], a[88:89], v[200:203]// 0000000044E8: D3F300C8 1F22B1A8
	v_mfma_f32_16x16x32_fp8_fp8 v[200:203], a[170:171], a[90:91], v[200:203]// 0000000044F0: D3F300C8 1F22B5AA
	v_mfma_f32_16x16x32_fp8_fp8 v[200:203], a[172:173], a[92:93], v[200:203]// 0000000044F8: D3F300C8 1F22B9AC
	v_mfma_f32_16x16x32_fp8_fp8 v[200:203], a[174:175], a[94:95], v[200:203]// 000000004500: D3F300C8 1F22BDAE
	ds_read_b128 a[40:43], v2 offset:2560                      // 000000004508: DBFE0A00 28000002
	ds_read_b128 a[44:47], v2 offset:2624                      // 000000004510: DBFE0A40 2C000002
	v_mfma_f32_16x16x32_fp8_fp8 v[168:171], a[160:161], a[96:97], v[168:171]// 000000004518: D3F300A8 1EA2C1A0
	v_mfma_f32_16x16x32_fp8_fp8 v[168:171], a[162:163], a[98:99], v[168:171]// 000000004520: D3F300A8 1EA2C5A2
	v_mfma_f32_16x16x32_fp8_fp8 v[168:171], a[164:165], a[100:101], v[168:171]// 000000004528: D3F300A8 1EA2C9A4
	v_mfma_f32_16x16x32_fp8_fp8 v[168:171], a[166:167], a[102:103], v[168:171]// 000000004530: D3F300A8 1EA2CDA6
	ds_read_b128 a[48:51], v2 offset:3072                      // 000000004538: DBFE0C00 30000002
	ds_read_b128 a[52:55], v2 offset:3136                      // 000000004540: DBFE0C40 34000002
	v_mfma_f32_16x16x32_fp8_fp8 v[204:207], a[168:169], a[96:97], v[204:207]// 000000004548: D3F300CC 1F32C1A8
	v_mfma_f32_16x16x32_fp8_fp8 v[204:207], a[170:171], a[98:99], v[204:207]// 000000004550: D3F300CC 1F32C5AA
	v_mfma_f32_16x16x32_fp8_fp8 v[204:207], a[172:173], a[100:101], v[204:207]// 000000004558: D3F300CC 1F32C9AC
	v_mfma_f32_16x16x32_fp8_fp8 v[204:207], a[174:175], a[102:103], v[204:207]// 000000004560: D3F300CC 1F32CDAE
	ds_read_b128 a[56:59], v2 offset:3584                      // 000000004568: DBFE0E00 38000002
	ds_read_b128 a[60:63], v2 offset:3648                      // 000000004570: DBFE0E40 3C000002
	v_mfma_f32_16x16x32_fp8_fp8 v[172:175], a[160:161], a[104:105], v[172:175]// 000000004578: D3F300AC 1EB2D1A0
	v_mfma_f32_16x16x32_fp8_fp8 v[172:175], a[162:163], a[106:107], v[172:175]// 000000004580: D3F300AC 1EB2D5A2
	v_mfma_f32_16x16x32_fp8_fp8 v[172:175], a[164:165], a[108:109], v[172:175]// 000000004588: D3F300AC 1EB2D9A4
	v_mfma_f32_16x16x32_fp8_fp8 v[172:175], a[166:167], a[110:111], v[172:175]// 000000004590: D3F300AC 1EB2DDA6
	ds_read_b128 a[64:67], v2 offset:4096                      // 000000004598: DBFE1000 40000002
	ds_read_b128 a[68:71], v2 offset:4160                      // 0000000045A0: DBFE1040 44000002
	v_mfma_f32_16x16x32_fp8_fp8 v[208:211], a[168:169], a[104:105], v[208:211]// 0000000045A8: D3F300D0 1F42D1A8
	v_mfma_f32_16x16x32_fp8_fp8 v[208:211], a[170:171], a[106:107], v[208:211]// 0000000045B0: D3F300D0 1F42D5AA
	v_mfma_f32_16x16x32_fp8_fp8 v[208:211], a[172:173], a[108:109], v[208:211]// 0000000045B8: D3F300D0 1F42D9AC
	v_mfma_f32_16x16x32_fp8_fp8 v[208:211], a[174:175], a[110:111], v[208:211]// 0000000045C0: D3F300D0 1F42DDAE
	v_mfma_f32_16x16x32_fp8_fp8 v[176:179], a[160:161], a[112:113], v[176:179]// 0000000045C8: D3F300B0 1EC2E1A0
	v_mfma_f32_16x16x32_fp8_fp8 v[176:179], a[162:163], a[114:115], v[176:179]// 0000000045D0: D3F300B0 1EC2E5A2
	v_mfma_f32_16x16x32_fp8_fp8 v[176:179], a[164:165], a[116:117], v[176:179]// 0000000045D8: D3F300B0 1EC2E9A4
	v_mfma_f32_16x16x32_fp8_fp8 v[176:179], a[166:167], a[118:119], v[176:179]// 0000000045E0: D3F300B0 1EC2EDA6
	v_mfma_f32_16x16x32_fp8_fp8 v[212:215], a[168:169], a[112:113], v[212:215]// 0000000045E8: D3F300D4 1F52E1A8
	v_mfma_f32_16x16x32_fp8_fp8 v[212:215], a[170:171], a[114:115], v[212:215]// 0000000045F0: D3F300D4 1F52E5AA
	v_mfma_f32_16x16x32_fp8_fp8 v[212:215], a[172:173], a[116:117], v[212:215]// 0000000045F8: D3F300D4 1F52E9AC
	v_mfma_f32_16x16x32_fp8_fp8 v[212:215], a[174:175], a[118:119], v[212:215]// 000000004600: D3F300D4 1F52EDAE
	v_mfma_f32_16x16x32_fp8_fp8 v[180:183], a[160:161], a[120:121], v[180:183]// 000000004608: D3F300B4 1ED2F1A0
	v_mfma_f32_16x16x32_fp8_fp8 v[180:183], a[162:163], a[122:123], v[180:183]// 000000004610: D3F300B4 1ED2F5A2
	v_mfma_f32_16x16x32_fp8_fp8 v[180:183], a[164:165], a[124:125], v[180:183]// 000000004618: D3F300B4 1ED2F9A4
	v_mfma_f32_16x16x32_fp8_fp8 v[180:183], a[166:167], a[126:127], v[180:183]// 000000004620: D3F300B4 1ED2FDA6
	v_mfma_f32_16x16x32_fp8_fp8 v[216:219], a[168:169], a[120:121], v[216:219]// 000000004628: D3F300D8 1F62F1A8
	v_mfma_f32_16x16x32_fp8_fp8 v[216:219], a[170:171], a[122:123], v[216:219]// 000000004630: D3F300D8 1F62F5AA
	v_mfma_f32_16x16x32_fp8_fp8 v[216:219], a[172:173], a[124:125], v[216:219]// 000000004638: D3F300D8 1F62F9AC
	v_mfma_f32_16x16x32_fp8_fp8 v[216:219], a[174:175], a[126:127], v[216:219]// 000000004640: D3F300D8 1F62FDAE
	v_mfma_f32_16x16x32_fp8_fp8 v[184:187], a[160:161], a[128:129], v[184:187]// 000000004648: D3F300B8 1EE301A0
	v_mfma_f32_16x16x32_fp8_fp8 v[184:187], a[162:163], a[130:131], v[184:187]// 000000004650: D3F300B8 1EE305A2
	v_mfma_f32_16x16x32_fp8_fp8 v[184:187], a[164:165], a[132:133], v[184:187]// 000000004658: D3F300B8 1EE309A4
	v_mfma_f32_16x16x32_fp8_fp8 v[184:187], a[166:167], a[134:135], v[184:187]// 000000004660: D3F300B8 1EE30DA6
	v_mfma_f32_16x16x32_fp8_fp8 v[220:223], a[168:169], a[128:129], v[220:223]// 000000004668: D3F300DC 1F7301A8
	v_mfma_f32_16x16x32_fp8_fp8 v[220:223], a[170:171], a[130:131], v[220:223]// 000000004670: D3F300DC 1F7305AA
	v_mfma_f32_16x16x32_fp8_fp8 v[220:223], a[172:173], a[132:133], v[220:223]// 000000004678: D3F300DC 1F7309AC
	v_mfma_f32_16x16x32_fp8_fp8 v[220:223], a[174:175], a[134:135], v[220:223]// 000000004680: D3F300DC 1F730DAE
	v_mfma_f32_16x16x32_fp8_fp8 v[188:191], a[160:161], a[136:137], v[188:191]// 000000004688: D3F300BC 1EF311A0
	v_mfma_f32_16x16x32_fp8_fp8 v[188:191], a[162:163], a[138:139], v[188:191]// 000000004690: D3F300BC 1EF315A2
	v_mfma_f32_16x16x32_fp8_fp8 v[188:191], a[164:165], a[140:141], v[188:191]// 000000004698: D3F300BC 1EF319A4
	s_add_u32 s60, 0x180, s80                                  // 0000000046A0: 803C50FF 00000180
	s_cmp_lt_u32 s60, s81                                      // 0000000046A8: BF0A513C
	s_cselect_b32 s57, s57, 0                                  // 0000000046AC: 85398039
	v_mfma_f32_16x16x32_fp8_fp8 v[188:191], a[166:167], a[142:143], v[188:191]// 0000000046B0: D3F300BC 1EF31DA6
	s_add_u32 s60, 0x100, s80                                  // 0000000046B8: 803C50FF 00000100
	s_cmp_lt_u32 s60, s81                                      // 0000000046C0: BF0A513C
	s_cselect_b32 s58, s58, 0                                  // 0000000046C4: 853A803A
	v_mfma_f32_16x16x32_fp8_fp8 v[224:227], a[168:169], a[136:137], v[224:227]// 0000000046C8: D3F300E0 1F8311A8
	s_add_u32 s24, s58, s24                                    // 0000000046D0: 8018183A
	s_addc_u32 s25, 0, s25                                     // 0000000046D4: 82191980
	v_mfma_f32_16x16x32_fp8_fp8 v[224:227], a[170:171], a[138:139], v[224:227]// 0000000046D8: D3F300E0 1F8315AA
	s_add_u32 s20, s57, s20                                    // 0000000046E0: 80141439
	s_addc_u32 s21, 0, s21                                     // 0000000046E4: 82151580
	v_mfma_f32_16x16x32_fp8_fp8 v[224:227], a[172:173], a[140:141], v[224:227]// 0000000046E8: D3F300E0 1F8319AC
	s_add_u32 s84, s83, s84                                    // 0000000046F0: 80545453
	s_addc_u32 s85, 0, s85                                     // 0000000046F4: 82555580
	v_mfma_f32_16x16x32_fp8_fp8 v[224:227], a[174:175], a[142:143], v[224:227]// 0000000046F8: D3F300E0 1F831DAE
	s_addk_i32 s80, 0x80                                       // 000000004700: B7500080
	s_cmp_lt_i32 s80, s81                                      // 000000004704: BF045150
	s_cbranch_scc0 label_0744                                  // 000000004708: BF840001
	s_branch label_03DB                                        // 00000000470C: BF82FC97

0000000000004710 <label_0744>:
	v_mul_f32_dpp v84, v24, v84 row_newbcast:0 row_mask:0xf bank_mask:0xf// 000000004710: 0AA8A8FA FF015018
	v_mul_f32_dpp v85, v24, v85 row_newbcast:1 row_mask:0xf bank_mask:0xf// 000000004718: 0AAAAAFA FF015118
	v_mul_f32_dpp v86, v24, v86 row_newbcast:2 row_mask:0xf bank_mask:0xf// 000000004720: 0AACACFA FF015218
	v_mul_f32_dpp v87, v24, v87 row_newbcast:3 row_mask:0xf bank_mask:0xf// 000000004728: 0AAEAEFA FF015318
	v_mul_f32_dpp v88, v24, v88 row_newbcast:0 row_mask:0xf bank_mask:0xf// 000000004730: 0AB0B0FA FF015018
	v_mul_f32_dpp v89, v24, v89 row_newbcast:1 row_mask:0xf bank_mask:0xf// 000000004738: 0AB2B2FA FF015118
	v_mul_f32_dpp v90, v24, v90 row_newbcast:2 row_mask:0xf bank_mask:0xf// 000000004740: 0AB4B4FA FF015218
	v_mul_f32_dpp v91, v24, v91 row_newbcast:3 row_mask:0xf bank_mask:0xf// 000000004748: 0AB6B6FA FF015318
	v_mul_f32_dpp v92, v24, v92 row_newbcast:0 row_mask:0xf bank_mask:0xf// 000000004750: 0AB8B8FA FF015018
	v_mul_f32_dpp v93, v24, v93 row_newbcast:1 row_mask:0xf bank_mask:0xf// 000000004758: 0ABABAFA FF015118
	v_mul_f32_dpp v94, v24, v94 row_newbcast:2 row_mask:0xf bank_mask:0xf// 000000004760: 0ABCBCFA FF015218
	v_mul_f32_dpp v95, v24, v95 row_newbcast:3 row_mask:0xf bank_mask:0xf// 000000004768: 0ABEBEFA FF015318
	v_mul_f32_dpp v96, v24, v96 row_newbcast:0 row_mask:0xf bank_mask:0xf// 000000004770: 0AC0C0FA FF015018
	v_mul_f32_dpp v97, v24, v97 row_newbcast:1 row_mask:0xf bank_mask:0xf// 000000004778: 0AC2C2FA FF015118
	v_mul_f32_dpp v98, v24, v98 row_newbcast:2 row_mask:0xf bank_mask:0xf// 000000004780: 0AC4C4FA FF015218
	v_mul_f32_dpp v99, v24, v99 row_newbcast:3 row_mask:0xf bank_mask:0xf// 000000004788: 0AC6C6FA FF015318
	v_mul_f32_dpp v100, v24, v100 row_newbcast:0 row_mask:0xf bank_mask:0xf// 000000004790: 0AC8C8FA FF015018
	v_mul_f32_dpp v101, v24, v101 row_newbcast:1 row_mask:0xf bank_mask:0xf// 000000004798: 0ACACAFA FF015118
	v_mul_f32_dpp v102, v24, v102 row_newbcast:2 row_mask:0xf bank_mask:0xf// 0000000047A0: 0ACCCCFA FF015218
	v_mul_f32_dpp v103, v24, v103 row_newbcast:3 row_mask:0xf bank_mask:0xf// 0000000047A8: 0ACECEFA FF015318
	v_mul_f32_dpp v104, v24, v104 row_newbcast:0 row_mask:0xf bank_mask:0xf// 0000000047B0: 0AD0D0FA FF015018
	v_mul_f32_dpp v105, v24, v105 row_newbcast:1 row_mask:0xf bank_mask:0xf// 0000000047B8: 0AD2D2FA FF015118
	v_mul_f32_dpp v106, v24, v106 row_newbcast:2 row_mask:0xf bank_mask:0xf// 0000000047C0: 0AD4D4FA FF015218
	v_mul_f32_dpp v107, v24, v107 row_newbcast:3 row_mask:0xf bank_mask:0xf// 0000000047C8: 0AD6D6FA FF015318
	v_mul_f32_dpp v108, v24, v108 row_newbcast:0 row_mask:0xf bank_mask:0xf// 0000000047D0: 0AD8D8FA FF015018
	v_mul_f32_dpp v109, v24, v109 row_newbcast:1 row_mask:0xf bank_mask:0xf// 0000000047D8: 0ADADAFA FF015118
	v_mul_f32_dpp v110, v24, v110 row_newbcast:2 row_mask:0xf bank_mask:0xf// 0000000047E0: 0ADCDCFA FF015218
	v_mul_f32_dpp v111, v24, v111 row_newbcast:3 row_mask:0xf bank_mask:0xf// 0000000047E8: 0ADEDEFA FF015318
	v_mul_f32_dpp v112, v24, v112 row_newbcast:0 row_mask:0xf bank_mask:0xf// 0000000047F0: 0AE0E0FA FF015018
	v_mul_f32_dpp v113, v24, v113 row_newbcast:1 row_mask:0xf bank_mask:0xf// 0000000047F8: 0AE2E2FA FF015118
	v_mul_f32_dpp v114, v24, v114 row_newbcast:2 row_mask:0xf bank_mask:0xf// 000000004800: 0AE4E4FA FF015218
	v_mul_f32_dpp v115, v24, v115 row_newbcast:3 row_mask:0xf bank_mask:0xf// 000000004808: 0AE6E6FA FF015318
	v_mul_f32_dpp v116, v24, v116 row_newbcast:0 row_mask:0xf bank_mask:0xf// 000000004810: 0AE8E8FA FF015018
	v_mul_f32_dpp v117, v24, v117 row_newbcast:1 row_mask:0xf bank_mask:0xf// 000000004818: 0AEAEAFA FF015118
	v_mul_f32_dpp v118, v24, v118 row_newbcast:2 row_mask:0xf bank_mask:0xf// 000000004820: 0AECECFA FF015218
	v_mul_f32_dpp v119, v24, v119 row_newbcast:3 row_mask:0xf bank_mask:0xf// 000000004828: 0AEEEEFA FF015318
	v_mul_f32_dpp v120, v24, v120 row_newbcast:4 row_mask:0xf bank_mask:0xf// 000000004830: 0AF0F0FA FF015418
	v_mul_f32_dpp v121, v24, v121 row_newbcast:5 row_mask:0xf bank_mask:0xf// 000000004838: 0AF2F2FA FF015518
	v_mul_f32_dpp v122, v24, v122 row_newbcast:6 row_mask:0xf bank_mask:0xf// 000000004840: 0AF4F4FA FF015618
	v_mul_f32_dpp v123, v24, v123 row_newbcast:7 row_mask:0xf bank_mask:0xf// 000000004848: 0AF6F6FA FF015718
	v_mul_f32_dpp v124, v24, v124 row_newbcast:4 row_mask:0xf bank_mask:0xf// 000000004850: 0AF8F8FA FF015418
	v_mul_f32_dpp v125, v24, v125 row_newbcast:5 row_mask:0xf bank_mask:0xf// 000000004858: 0AFAFAFA FF015518
	v_mul_f32_dpp v126, v24, v126 row_newbcast:6 row_mask:0xf bank_mask:0xf// 000000004860: 0AFCFCFA FF015618
	v_mul_f32_dpp v127, v24, v127 row_newbcast:7 row_mask:0xf bank_mask:0xf// 000000004868: 0AFEFEFA FF015718
	v_mul_f32_dpp v128, v24, v128 row_newbcast:4 row_mask:0xf bank_mask:0xf// 000000004870: 0B0100FA FF015418
	v_mul_f32_dpp v129, v24, v129 row_newbcast:5 row_mask:0xf bank_mask:0xf// 000000004878: 0B0302FA FF015518
	v_mul_f32_dpp v130, v24, v130 row_newbcast:6 row_mask:0xf bank_mask:0xf// 000000004880: 0B0504FA FF015618
	v_mul_f32_dpp v131, v24, v131 row_newbcast:7 row_mask:0xf bank_mask:0xf// 000000004888: 0B0706FA FF015718
	v_mul_f32_dpp v132, v24, v132 row_newbcast:4 row_mask:0xf bank_mask:0xf// 000000004890: 0B0908FA FF015418
	v_mul_f32_dpp v133, v24, v133 row_newbcast:5 row_mask:0xf bank_mask:0xf// 000000004898: 0B0B0AFA FF015518
	v_mul_f32_dpp v134, v24, v134 row_newbcast:6 row_mask:0xf bank_mask:0xf// 0000000048A0: 0B0D0CFA FF015618
	v_mul_f32_dpp v135, v24, v135 row_newbcast:7 row_mask:0xf bank_mask:0xf// 0000000048A8: 0B0F0EFA FF015718
	v_mul_f32_dpp v136, v24, v136 row_newbcast:4 row_mask:0xf bank_mask:0xf// 0000000048B0: 0B1110FA FF015418
	v_mul_f32_dpp v137, v24, v137 row_newbcast:5 row_mask:0xf bank_mask:0xf// 0000000048B8: 0B1312FA FF015518
	v_mul_f32_dpp v138, v24, v138 row_newbcast:6 row_mask:0xf bank_mask:0xf// 0000000048C0: 0B1514FA FF015618
	v_mul_f32_dpp v139, v24, v139 row_newbcast:7 row_mask:0xf bank_mask:0xf// 0000000048C8: 0B1716FA FF015718
	v_mul_f32_dpp v140, v24, v140 row_newbcast:4 row_mask:0xf bank_mask:0xf// 0000000048D0: 0B1918FA FF015418
	v_mul_f32_dpp v141, v24, v141 row_newbcast:5 row_mask:0xf bank_mask:0xf// 0000000048D8: 0B1B1AFA FF015518
	v_mul_f32_dpp v142, v24, v142 row_newbcast:6 row_mask:0xf bank_mask:0xf// 0000000048E0: 0B1D1CFA FF015618
	v_mul_f32_dpp v143, v24, v143 row_newbcast:7 row_mask:0xf bank_mask:0xf// 0000000048E8: 0B1F1EFA FF015718
	v_mul_f32_dpp v144, v24, v144 row_newbcast:4 row_mask:0xf bank_mask:0xf// 0000000048F0: 0B2120FA FF015418
	v_mul_f32_dpp v145, v24, v145 row_newbcast:5 row_mask:0xf bank_mask:0xf// 0000000048F8: 0B2322FA FF015518
	v_mul_f32_dpp v146, v24, v146 row_newbcast:6 row_mask:0xf bank_mask:0xf// 000000004900: 0B2524FA FF015618
	v_mul_f32_dpp v147, v24, v147 row_newbcast:7 row_mask:0xf bank_mask:0xf// 000000004908: 0B2726FA FF015718
	v_mul_f32_dpp v148, v24, v148 row_newbcast:4 row_mask:0xf bank_mask:0xf// 000000004910: 0B2928FA FF015418
	v_mul_f32_dpp v149, v24, v149 row_newbcast:5 row_mask:0xf bank_mask:0xf// 000000004918: 0B2B2AFA FF015518
	v_mul_f32_dpp v150, v24, v150 row_newbcast:6 row_mask:0xf bank_mask:0xf// 000000004920: 0B2D2CFA FF015618
	v_mul_f32_dpp v151, v24, v151 row_newbcast:7 row_mask:0xf bank_mask:0xf// 000000004928: 0B2F2EFA FF015718
	v_mul_f32_dpp v152, v24, v152 row_newbcast:4 row_mask:0xf bank_mask:0xf// 000000004930: 0B3130FA FF015418
	v_mul_f32_dpp v153, v24, v153 row_newbcast:5 row_mask:0xf bank_mask:0xf// 000000004938: 0B3332FA FF015518
	v_mul_f32_dpp v154, v24, v154 row_newbcast:6 row_mask:0xf bank_mask:0xf// 000000004940: 0B3534FA FF015618
	v_mul_f32_dpp v155, v24, v155 row_newbcast:7 row_mask:0xf bank_mask:0xf// 000000004948: 0B3736FA FF015718
	v_mul_f32_dpp v156, v26, v156 row_newbcast:0 row_mask:0xf bank_mask:0xf// 000000004950: 0B3938FA FF01501A
	v_mul_f32_dpp v157, v26, v157 row_newbcast:1 row_mask:0xf bank_mask:0xf// 000000004958: 0B3B3AFA FF01511A
	v_mul_f32_dpp v158, v26, v158 row_newbcast:2 row_mask:0xf bank_mask:0xf// 000000004960: 0B3D3CFA FF01521A
	v_mul_f32_dpp v159, v26, v159 row_newbcast:3 row_mask:0xf bank_mask:0xf// 000000004968: 0B3F3EFA FF01531A
	v_mul_f32_dpp v160, v26, v160 row_newbcast:0 row_mask:0xf bank_mask:0xf// 000000004970: 0B4140FA FF01501A
	v_mul_f32_dpp v161, v26, v161 row_newbcast:1 row_mask:0xf bank_mask:0xf// 000000004978: 0B4342FA FF01511A
	v_mul_f32_dpp v162, v26, v162 row_newbcast:2 row_mask:0xf bank_mask:0xf// 000000004980: 0B4544FA FF01521A
	v_mul_f32_dpp v163, v26, v163 row_newbcast:3 row_mask:0xf bank_mask:0xf// 000000004988: 0B4746FA FF01531A
	v_mul_f32_dpp v164, v26, v164 row_newbcast:0 row_mask:0xf bank_mask:0xf// 000000004990: 0B4948FA FF01501A
	v_mul_f32_dpp v165, v26, v165 row_newbcast:1 row_mask:0xf bank_mask:0xf// 000000004998: 0B4B4AFA FF01511A
	v_mul_f32_dpp v166, v26, v166 row_newbcast:2 row_mask:0xf bank_mask:0xf// 0000000049A0: 0B4D4CFA FF01521A
	v_mul_f32_dpp v167, v26, v167 row_newbcast:3 row_mask:0xf bank_mask:0xf// 0000000049A8: 0B4F4EFA FF01531A
	v_mul_f32_dpp v168, v26, v168 row_newbcast:0 row_mask:0xf bank_mask:0xf// 0000000049B0: 0B5150FA FF01501A
	v_mul_f32_dpp v169, v26, v169 row_newbcast:1 row_mask:0xf bank_mask:0xf// 0000000049B8: 0B5352FA FF01511A
	v_mul_f32_dpp v170, v26, v170 row_newbcast:2 row_mask:0xf bank_mask:0xf// 0000000049C0: 0B5554FA FF01521A
	v_mul_f32_dpp v171, v26, v171 row_newbcast:3 row_mask:0xf bank_mask:0xf// 0000000049C8: 0B5756FA FF01531A
	v_mul_f32_dpp v172, v26, v172 row_newbcast:0 row_mask:0xf bank_mask:0xf// 0000000049D0: 0B5958FA FF01501A
	v_mul_f32_dpp v173, v26, v173 row_newbcast:1 row_mask:0xf bank_mask:0xf// 0000000049D8: 0B5B5AFA FF01511A
	v_mul_f32_dpp v174, v26, v174 row_newbcast:2 row_mask:0xf bank_mask:0xf// 0000000049E0: 0B5D5CFA FF01521A
	v_mul_f32_dpp v175, v26, v175 row_newbcast:3 row_mask:0xf bank_mask:0xf// 0000000049E8: 0B5F5EFA FF01531A
	v_mul_f32_dpp v176, v26, v176 row_newbcast:0 row_mask:0xf bank_mask:0xf// 0000000049F0: 0B6160FA FF01501A
	v_mul_f32_dpp v177, v26, v177 row_newbcast:1 row_mask:0xf bank_mask:0xf// 0000000049F8: 0B6362FA FF01511A
	v_mul_f32_dpp v178, v26, v178 row_newbcast:2 row_mask:0xf bank_mask:0xf// 000000004A00: 0B6564FA FF01521A
	v_mul_f32_dpp v179, v26, v179 row_newbcast:3 row_mask:0xf bank_mask:0xf// 000000004A08: 0B6766FA FF01531A
	v_mul_f32_dpp v180, v26, v180 row_newbcast:0 row_mask:0xf bank_mask:0xf// 000000004A10: 0B6968FA FF01501A
	v_mul_f32_dpp v181, v26, v181 row_newbcast:1 row_mask:0xf bank_mask:0xf// 000000004A18: 0B6B6AFA FF01511A
	v_mul_f32_dpp v182, v26, v182 row_newbcast:2 row_mask:0xf bank_mask:0xf// 000000004A20: 0B6D6CFA FF01521A
	v_mul_f32_dpp v183, v26, v183 row_newbcast:3 row_mask:0xf bank_mask:0xf// 000000004A28: 0B6F6EFA FF01531A
	v_mul_f32_dpp v184, v26, v184 row_newbcast:0 row_mask:0xf bank_mask:0xf// 000000004A30: 0B7170FA FF01501A
	v_mul_f32_dpp v185, v26, v185 row_newbcast:1 row_mask:0xf bank_mask:0xf// 000000004A38: 0B7372FA FF01511A
	v_mul_f32_dpp v186, v26, v186 row_newbcast:2 row_mask:0xf bank_mask:0xf// 000000004A40: 0B7574FA FF01521A
	v_mul_f32_dpp v187, v26, v187 row_newbcast:3 row_mask:0xf bank_mask:0xf// 000000004A48: 0B7776FA FF01531A
	v_mul_f32_dpp v188, v26, v188 row_newbcast:0 row_mask:0xf bank_mask:0xf// 000000004A50: 0B7978FA FF01501A
	v_mul_f32_dpp v189, v26, v189 row_newbcast:1 row_mask:0xf bank_mask:0xf// 000000004A58: 0B7B7AFA FF01511A
	v_mul_f32_dpp v190, v26, v190 row_newbcast:2 row_mask:0xf bank_mask:0xf// 000000004A60: 0B7D7CFA FF01521A
	v_mul_f32_dpp v191, v26, v191 row_newbcast:3 row_mask:0xf bank_mask:0xf// 000000004A68: 0B7F7EFA FF01531A
	v_mul_f32_dpp v192, v26, v192 row_newbcast:4 row_mask:0xf bank_mask:0xf// 000000004A70: 0B8180FA FF01541A
	v_mul_f32_dpp v193, v26, v193 row_newbcast:5 row_mask:0xf bank_mask:0xf// 000000004A78: 0B8382FA FF01551A
	v_mul_f32_dpp v194, v26, v194 row_newbcast:6 row_mask:0xf bank_mask:0xf// 000000004A80: 0B8584FA FF01561A
	v_mul_f32_dpp v195, v26, v195 row_newbcast:7 row_mask:0xf bank_mask:0xf// 000000004A88: 0B8786FA FF01571A
	v_mul_f32_dpp v196, v26, v196 row_newbcast:4 row_mask:0xf bank_mask:0xf// 000000004A90: 0B8988FA FF01541A
	v_mul_f32_dpp v197, v26, v197 row_newbcast:5 row_mask:0xf bank_mask:0xf// 000000004A98: 0B8B8AFA FF01551A
	v_mul_f32_dpp v198, v26, v198 row_newbcast:6 row_mask:0xf bank_mask:0xf// 000000004AA0: 0B8D8CFA FF01561A
	v_mul_f32_dpp v199, v26, v199 row_newbcast:7 row_mask:0xf bank_mask:0xf// 000000004AA8: 0B8F8EFA FF01571A
	v_mul_f32_dpp v200, v26, v200 row_newbcast:4 row_mask:0xf bank_mask:0xf// 000000004AB0: 0B9190FA FF01541A
	v_mul_f32_dpp v201, v26, v201 row_newbcast:5 row_mask:0xf bank_mask:0xf// 000000004AB8: 0B9392FA FF01551A
	v_mul_f32_dpp v202, v26, v202 row_newbcast:6 row_mask:0xf bank_mask:0xf// 000000004AC0: 0B9594FA FF01561A
	v_mul_f32_dpp v203, v26, v203 row_newbcast:7 row_mask:0xf bank_mask:0xf// 000000004AC8: 0B9796FA FF01571A
	v_mul_f32_dpp v204, v26, v204 row_newbcast:4 row_mask:0xf bank_mask:0xf// 000000004AD0: 0B9998FA FF01541A
	v_mul_f32_dpp v205, v26, v205 row_newbcast:5 row_mask:0xf bank_mask:0xf// 000000004AD8: 0B9B9AFA FF01551A
	v_mul_f32_dpp v206, v26, v206 row_newbcast:6 row_mask:0xf bank_mask:0xf// 000000004AE0: 0B9D9CFA FF01561A
	v_mul_f32_dpp v207, v26, v207 row_newbcast:7 row_mask:0xf bank_mask:0xf// 000000004AE8: 0B9F9EFA FF01571A
	v_mul_f32_dpp v208, v26, v208 row_newbcast:4 row_mask:0xf bank_mask:0xf// 000000004AF0: 0BA1A0FA FF01541A
	v_mul_f32_dpp v209, v26, v209 row_newbcast:5 row_mask:0xf bank_mask:0xf// 000000004AF8: 0BA3A2FA FF01551A
	v_mul_f32_dpp v210, v26, v210 row_newbcast:6 row_mask:0xf bank_mask:0xf// 000000004B00: 0BA5A4FA FF01561A
	v_mul_f32_dpp v211, v26, v211 row_newbcast:7 row_mask:0xf bank_mask:0xf// 000000004B08: 0BA7A6FA FF01571A
	v_mul_f32_dpp v212, v26, v212 row_newbcast:4 row_mask:0xf bank_mask:0xf// 000000004B10: 0BA9A8FA FF01541A
	v_mul_f32_dpp v213, v26, v213 row_newbcast:5 row_mask:0xf bank_mask:0xf// 000000004B18: 0BABAAFA FF01551A
	v_mul_f32_dpp v214, v26, v214 row_newbcast:6 row_mask:0xf bank_mask:0xf// 000000004B20: 0BADACFA FF01561A
	v_mul_f32_dpp v215, v26, v215 row_newbcast:7 row_mask:0xf bank_mask:0xf// 000000004B28: 0BAFAEFA FF01571A
	v_mul_f32_dpp v216, v26, v216 row_newbcast:4 row_mask:0xf bank_mask:0xf// 000000004B30: 0BB1B0FA FF01541A
	v_mul_f32_dpp v217, v26, v217 row_newbcast:5 row_mask:0xf bank_mask:0xf// 000000004B38: 0BB3B2FA FF01551A
	v_mul_f32_dpp v218, v26, v218 row_newbcast:6 row_mask:0xf bank_mask:0xf// 000000004B40: 0BB5B4FA FF01561A
	v_mul_f32_dpp v219, v26, v219 row_newbcast:7 row_mask:0xf bank_mask:0xf// 000000004B48: 0BB7B6FA FF01571A
	v_mul_f32_dpp v220, v26, v220 row_newbcast:4 row_mask:0xf bank_mask:0xf// 000000004B50: 0BB9B8FA FF01541A
	v_mul_f32_dpp v221, v26, v221 row_newbcast:5 row_mask:0xf bank_mask:0xf// 000000004B58: 0BBBBAFA FF01551A
	v_mul_f32_dpp v222, v26, v222 row_newbcast:6 row_mask:0xf bank_mask:0xf// 000000004B60: 0BBDBCFA FF01561A
	v_mul_f32_dpp v223, v26, v223 row_newbcast:7 row_mask:0xf bank_mask:0xf// 000000004B68: 0BBFBEFA FF01571A
	v_mul_f32_dpp v224, v26, v224 row_newbcast:4 row_mask:0xf bank_mask:0xf// 000000004B70: 0BC1C0FA FF01541A
	v_mul_f32_dpp v225, v26, v225 row_newbcast:5 row_mask:0xf bank_mask:0xf// 000000004B78: 0BC3C2FA FF01551A
	v_mul_f32_dpp v226, v26, v226 row_newbcast:6 row_mask:0xf bank_mask:0xf// 000000004B80: 0BC5C4FA FF01561A
	v_mul_f32_dpp v227, v26, v227 row_newbcast:7 row_mask:0xf bank_mask:0xf// 000000004B88: 0BC7C6FA FF01571A
	v_mov_b32_e32 v4, v37                                      // 000000004B90: 7E080325
	v_mov_b32_e32 v5, v4                                       // 000000004B94: 7E0A0304
	v_pk_mul_f32 v[84:85], v[4:5], v[84:85]                    // 000000004B98: D3B14054 1802A904
	v_pk_mul_f32 v[156:157], v[4:5], v[156:157]                // 000000004BA0: D3B1409C 18033904
	v_pk_mul_f32 v[86:87], v[4:5], v[86:87]                    // 000000004BA8: D3B14056 1802AD04
	v_pk_mul_f32 v[158:159], v[4:5], v[158:159]                // 000000004BB0: D3B1409E 18033D04
	v_pk_mul_f32 v[120:121], v[4:5], v[120:121]                // 000000004BB8: D3B14078 1802F104
	v_pk_mul_f32 v[192:193], v[4:5], v[192:193]                // 000000004BC0: D3B140C0 18038104
	v_pk_mul_f32 v[122:123], v[4:5], v[122:123]                // 000000004BC8: D3B1407A 1802F504
	v_pk_mul_f32 v[194:195], v[4:5], v[194:195]                // 000000004BD0: D3B140C2 18038504
	v_mov_b32_e32 v4, v38                                      // 000000004BD8: 7E080326
	v_mov_b32_e32 v5, v4                                       // 000000004BDC: 7E0A0304
	v_pk_mul_f32 v[88:89], v[4:5], v[88:89]                    // 000000004BE0: D3B14058 1802B104
	v_pk_mul_f32 v[160:161], v[4:5], v[160:161]                // 000000004BE8: D3B140A0 18034104
	v_pk_mul_f32 v[90:91], v[4:5], v[90:91]                    // 000000004BF0: D3B1405A 1802B504
	v_pk_mul_f32 v[162:163], v[4:5], v[162:163]                // 000000004BF8: D3B140A2 18034504
	v_pk_mul_f32 v[124:125], v[4:5], v[124:125]                // 000000004C00: D3B1407C 1802F904
	v_pk_mul_f32 v[196:197], v[4:5], v[196:197]                // 000000004C08: D3B140C4 18038904
	v_pk_mul_f32 v[126:127], v[4:5], v[126:127]                // 000000004C10: D3B1407E 1802FD04
	v_pk_mul_f32 v[198:199], v[4:5], v[198:199]                // 000000004C18: D3B140C6 18038D04
	v_mov_b32_e32 v4, v39                                      // 000000004C20: 7E080327
	v_mov_b32_e32 v5, v4                                       // 000000004C24: 7E0A0304
	v_pk_mul_f32 v[92:93], v[4:5], v[92:93]                    // 000000004C28: D3B1405C 1802B904
	v_pk_mul_f32 v[164:165], v[4:5], v[164:165]                // 000000004C30: D3B140A4 18034904
	v_pk_mul_f32 v[94:95], v[4:5], v[94:95]                    // 000000004C38: D3B1405E 1802BD04
	v_pk_mul_f32 v[166:167], v[4:5], v[166:167]                // 000000004C40: D3B140A6 18034D04
	v_pk_mul_f32 v[128:129], v[4:5], v[128:129]                // 000000004C48: D3B14080 18030104
	v_pk_mul_f32 v[200:201], v[4:5], v[200:201]                // 000000004C50: D3B140C8 18039104
	v_pk_mul_f32 v[130:131], v[4:5], v[130:131]                // 000000004C58: D3B14082 18030504
	v_pk_mul_f32 v[202:203], v[4:5], v[202:203]                // 000000004C60: D3B140CA 18039504
	v_mov_b32_e32 v4, v40                                      // 000000004C68: 7E080328
	v_mov_b32_e32 v5, v4                                       // 000000004C6C: 7E0A0304
	v_pk_mul_f32 v[96:97], v[4:5], v[96:97]                    // 000000004C70: D3B14060 1802C104
	v_pk_mul_f32 v[168:169], v[4:5], v[168:169]                // 000000004C78: D3B140A8 18035104
	v_pk_mul_f32 v[98:99], v[4:5], v[98:99]                    // 000000004C80: D3B14062 1802C504
	v_pk_mul_f32 v[170:171], v[4:5], v[170:171]                // 000000004C88: D3B140AA 18035504
	v_pk_mul_f32 v[132:133], v[4:5], v[132:133]                // 000000004C90: D3B14084 18030904
	v_pk_mul_f32 v[204:205], v[4:5], v[204:205]                // 000000004C98: D3B140CC 18039904
	v_pk_mul_f32 v[134:135], v[4:5], v[134:135]                // 000000004CA0: D3B14086 18030D04
	v_pk_mul_f32 v[206:207], v[4:5], v[206:207]                // 000000004CA8: D3B140CE 18039D04
	v_mov_b32_e32 v4, v41                                      // 000000004CB0: 7E080329
	v_mov_b32_e32 v5, v4                                       // 000000004CB4: 7E0A0304
	v_pk_mul_f32 v[100:101], v[4:5], v[100:101]                // 000000004CB8: D3B14064 1802C904
	v_pk_mul_f32 v[172:173], v[4:5], v[172:173]                // 000000004CC0: D3B140AC 18035904
	v_pk_mul_f32 v[102:103], v[4:5], v[102:103]                // 000000004CC8: D3B14066 1802CD04
	v_pk_mul_f32 v[174:175], v[4:5], v[174:175]                // 000000004CD0: D3B140AE 18035D04
	v_pk_mul_f32 v[136:137], v[4:5], v[136:137]                // 000000004CD8: D3B14088 18031104
	v_pk_mul_f32 v[208:209], v[4:5], v[208:209]                // 000000004CE0: D3B140D0 1803A104
	v_pk_mul_f32 v[138:139], v[4:5], v[138:139]                // 000000004CE8: D3B1408A 18031504
	v_pk_mul_f32 v[210:211], v[4:5], v[210:211]                // 000000004CF0: D3B140D2 1803A504
	v_mov_b32_e32 v4, v42                                      // 000000004CF8: 7E08032A
	v_mov_b32_e32 v5, v4                                       // 000000004CFC: 7E0A0304
	v_pk_mul_f32 v[104:105], v[4:5], v[104:105]                // 000000004D00: D3B14068 1802D104
	v_pk_mul_f32 v[176:177], v[4:5], v[176:177]                // 000000004D08: D3B140B0 18036104
	v_pk_mul_f32 v[106:107], v[4:5], v[106:107]                // 000000004D10: D3B1406A 1802D504
	v_pk_mul_f32 v[178:179], v[4:5], v[178:179]                // 000000004D18: D3B140B2 18036504
	v_pk_mul_f32 v[140:141], v[4:5], v[140:141]                // 000000004D20: D3B1408C 18031904
	v_pk_mul_f32 v[212:213], v[4:5], v[212:213]                // 000000004D28: D3B140D4 1803A904
	v_pk_mul_f32 v[142:143], v[4:5], v[142:143]                // 000000004D30: D3B1408E 18031D04
	v_pk_mul_f32 v[214:215], v[4:5], v[214:215]                // 000000004D38: D3B140D6 1803AD04
	v_mov_b32_e32 v4, v43                                      // 000000004D40: 7E08032B
	v_mov_b32_e32 v5, v4                                       // 000000004D44: 7E0A0304
	v_pk_mul_f32 v[108:109], v[4:5], v[108:109]                // 000000004D48: D3B1406C 1802D904
	v_pk_mul_f32 v[180:181], v[4:5], v[180:181]                // 000000004D50: D3B140B4 18036904
	v_pk_mul_f32 v[110:111], v[4:5], v[110:111]                // 000000004D58: D3B1406E 1802DD04
	v_pk_mul_f32 v[182:183], v[4:5], v[182:183]                // 000000004D60: D3B140B6 18036D04
	v_pk_mul_f32 v[144:145], v[4:5], v[144:145]                // 000000004D68: D3B14090 18032104
	v_pk_mul_f32 v[216:217], v[4:5], v[216:217]                // 000000004D70: D3B140D8 1803B104
	v_pk_mul_f32 v[146:147], v[4:5], v[146:147]                // 000000004D78: D3B14092 18032504
	v_pk_mul_f32 v[218:219], v[4:5], v[218:219]                // 000000004D80: D3B140DA 1803B504
	v_mov_b32_e32 v4, v44                                      // 000000004D88: 7E08032C
	v_mov_b32_e32 v5, v4                                       // 000000004D8C: 7E0A0304
	v_pk_mul_f32 v[112:113], v[4:5], v[112:113]                // 000000004D90: D3B14070 1802E104
	v_pk_mul_f32 v[184:185], v[4:5], v[184:185]                // 000000004D98: D3B140B8 18037104
	v_pk_mul_f32 v[114:115], v[4:5], v[114:115]                // 000000004DA0: D3B14072 1802E504
	v_pk_mul_f32 v[186:187], v[4:5], v[186:187]                // 000000004DA8: D3B140BA 18037504
	v_pk_mul_f32 v[148:149], v[4:5], v[148:149]                // 000000004DB0: D3B14094 18032904
	v_pk_mul_f32 v[220:221], v[4:5], v[220:221]                // 000000004DB8: D3B140DC 1803B904
	v_pk_mul_f32 v[150:151], v[4:5], v[150:151]                // 000000004DC0: D3B14096 18032D04
	v_pk_mul_f32 v[222:223], v[4:5], v[222:223]                // 000000004DC8: D3B140DE 1803BD04
	v_mov_b32_e32 v4, v45                                      // 000000004DD0: 7E08032D
	v_mov_b32_e32 v5, v4                                       // 000000004DD4: 7E0A0304
	v_pk_mul_f32 v[116:117], v[4:5], v[116:117]                // 000000004DD8: D3B14074 1802E904
	v_pk_mul_f32 v[188:189], v[4:5], v[188:189]                // 000000004DE0: D3B140BC 18037904
	v_pk_mul_f32 v[118:119], v[4:5], v[118:119]                // 000000004DE8: D3B14076 1802ED04
	v_pk_mul_f32 v[190:191], v[4:5], v[190:191]                // 000000004DF0: D3B140BE 18037D04
	v_pk_mul_f32 v[152:153], v[4:5], v[152:153]                // 000000004DF8: D3B14098 18033104
	v_pk_mul_f32 v[224:225], v[4:5], v[224:225]                // 000000004E00: D3B140E0 1803C104
	v_pk_mul_f32 v[154:155], v[4:5], v[154:155]                // 000000004E08: D3B1409A 18033504
	v_pk_mul_f32 v[226:227], v[4:5], v[226:227]                // 000000004E10: D3B140E2 1803C504
	s_cmp_eq_u32 s88, 0                                        // 000000004E18: BF068058
	s_cbranch_scc0 label_1391                                  // 000000004E1C: BF840A89
	s_cmp_eq_u32 s89, 0                                        // 000000004E20: BF068059
	s_cbranch_scc1 label_0BDF                                  // 000000004E24: BF8502D5
	v_mov_b32_e32 v8, v1                                       // 000000004E28: 7E100301
	v_mov_b32_e32 v9, v1                                       // 000000004E2C: 7E120301
	s_mov_b32 s60, s6                                          // 000000004E30: BEBC0006
	s_mov_b32 s61, s6                                          // 000000004E34: BEBD0006
	v_pk_mul_f32 v[4:5], v[84:85], v[84:85]                    // 000000004E38: D3B14004 1802A954
	v_pk_mul_f32 v[6:7], v[86:87], v[86:87]                    // 000000004E40: D3B14006 1802AD56
	v_pk_fma_f32 v[4:5], v[4:5], s[78:79], v[8:9]              // 000000004E48: D3B04004 1C209D04
	v_pk_fma_f32 v[6:7], v[6:7], s[78:79], v[8:9]              // 000000004E50: D3B04006 1C209D06
	v_pk_mul_f32 v[4:5], v[4:5], v[84:85]                      // 000000004E58: D3B14004 1802A904
	v_pk_mul_f32 v[6:7], v[6:7], v[86:87]                      // 000000004E60: D3B14006 1802AD06
	v_pk_mul_f32 v[4:5], v[4:5], s[60:61]                      // 000000004E68: D3B14004 18007904
	v_pk_mul_f32 v[6:7], v[6:7], s[60:61]                      // 000000004E70: D3B14006 18007906
	v_exp_f32_e32 v4, v4                                       // 000000004E78: 7E084104
	v_exp_f32_e32 v5, v5                                       // 000000004E7C: 7E0A4105
	v_exp_f32_e32 v6, v6                                       // 000000004E80: 7E0C4106
	v_exp_f32_e32 v7, v7                                       // 000000004E84: 7E0E4107
	v_add_f32_e64 v4, v4, 1.0                                  // 000000004E88: D1010004 0001E504
	v_add_f32_e64 v5, v5, 1.0                                  // 000000004E90: D1010005 0001E505
	v_add_f32_e64 v6, v6, 1.0                                  // 000000004E98: D1010006 0001E506
	v_add_f32_e64 v7, v7, 1.0                                  // 000000004EA0: D1010007 0001E507
	v_rcp_f32_e32 v4, v4                                       // 000000004EA8: 7E084504
	v_rcp_f32_e32 v5, v5                                       // 000000004EAC: 7E0A4505
	v_rcp_f32_e32 v6, v6                                       // 000000004EB0: 7E0C4506
	v_rcp_f32_e32 v7, v7                                       // 000000004EB4: 7E0E4507
	v_mul_f32_e32 v84, v84, v4                                 // 000000004EB8: 0AA80954
	v_mul_f32_e32 v85, v85, v5                                 // 000000004EBC: 0AAA0B55
	v_mul_f32_e32 v86, v86, v6                                 // 000000004EC0: 0AAC0D56
	v_mul_f32_e32 v87, v87, v7                                 // 000000004EC4: 0AAE0F57
	v_mul_f32_e32 v84, v84, v156                               // 000000004EC8: 0AA93954
	v_mul_f32_e32 v85, v85, v157                               // 000000004ECC: 0AAB3B55
	v_mul_f32_e32 v86, v86, v158                               // 000000004ED0: 0AAD3D56
	v_mul_f32_e32 v87, v87, v159                               // 000000004ED4: 0AAF3F57
	v_pk_mul_f32 v[4:5], v[88:89], v[88:89]                    // 000000004ED8: D3B14004 1802B158
	v_pk_mul_f32 v[6:7], v[90:91], v[90:91]                    // 000000004EE0: D3B14006 1802B55A
	v_pk_fma_f32 v[4:5], v[4:5], s[78:79], v[8:9]              // 000000004EE8: D3B04004 1C209D04
	v_pk_fma_f32 v[6:7], v[6:7], s[78:79], v[8:9]              // 000000004EF0: D3B04006 1C209D06
	v_pk_mul_f32 v[4:5], v[4:5], v[88:89]                      // 000000004EF8: D3B14004 1802B104
	v_pk_mul_f32 v[6:7], v[6:7], v[90:91]                      // 000000004F00: D3B14006 1802B506
	v_pk_mul_f32 v[4:5], v[4:5], s[60:61]                      // 000000004F08: D3B14004 18007904
	v_pk_mul_f32 v[6:7], v[6:7], s[60:61]                      // 000000004F10: D3B14006 18007906
	v_exp_f32_e32 v4, v4                                       // 000000004F18: 7E084104
	v_exp_f32_e32 v5, v5                                       // 000000004F1C: 7E0A4105
	v_exp_f32_e32 v6, v6                                       // 000000004F20: 7E0C4106
	v_exp_f32_e32 v7, v7                                       // 000000004F24: 7E0E4107
	v_add_f32_e64 v4, v4, 1.0                                  // 000000004F28: D1010004 0001E504
	v_add_f32_e64 v5, v5, 1.0                                  // 000000004F30: D1010005 0001E505
	v_add_f32_e64 v6, v6, 1.0                                  // 000000004F38: D1010006 0001E506
	v_add_f32_e64 v7, v7, 1.0                                  // 000000004F40: D1010007 0001E507
	v_rcp_f32_e32 v4, v4                                       // 000000004F48: 7E084504
	v_rcp_f32_e32 v5, v5                                       // 000000004F4C: 7E0A4505
	v_rcp_f32_e32 v6, v6                                       // 000000004F50: 7E0C4506
	v_rcp_f32_e32 v7, v7                                       // 000000004F54: 7E0E4507
	v_mul_f32_e32 v88, v88, v4                                 // 000000004F58: 0AB00958
	v_mul_f32_e32 v89, v89, v5                                 // 000000004F5C: 0AB20B59
	v_mul_f32_e32 v90, v90, v6                                 // 000000004F60: 0AB40D5A
	v_mul_f32_e32 v91, v91, v7                                 // 000000004F64: 0AB60F5B
	v_mul_f32_e32 v88, v88, v160                               // 000000004F68: 0AB14158
	v_mul_f32_e32 v89, v89, v161                               // 000000004F6C: 0AB34359
	v_mul_f32_e32 v90, v90, v162                               // 000000004F70: 0AB5455A
	v_mul_f32_e32 v91, v91, v163                               // 000000004F74: 0AB7475B
	v_pk_mul_f32 v[4:5], v[92:93], v[92:93]                    // 000000004F78: D3B14004 1802B95C
	v_pk_mul_f32 v[6:7], v[94:95], v[94:95]                    // 000000004F80: D3B14006 1802BD5E
	v_pk_fma_f32 v[4:5], v[4:5], s[78:79], v[8:9]              // 000000004F88: D3B04004 1C209D04
	v_pk_fma_f32 v[6:7], v[6:7], s[78:79], v[8:9]              // 000000004F90: D3B04006 1C209D06
	v_pk_mul_f32 v[4:5], v[4:5], v[92:93]                      // 000000004F98: D3B14004 1802B904
	v_pk_mul_f32 v[6:7], v[6:7], v[94:95]                      // 000000004FA0: D3B14006 1802BD06
	v_pk_mul_f32 v[4:5], v[4:5], s[60:61]                      // 000000004FA8: D3B14004 18007904
	v_pk_mul_f32 v[6:7], v[6:7], s[60:61]                      // 000000004FB0: D3B14006 18007906
	v_exp_f32_e32 v4, v4                                       // 000000004FB8: 7E084104
	v_exp_f32_e32 v5, v5                                       // 000000004FBC: 7E0A4105
	v_exp_f32_e32 v6, v6                                       // 000000004FC0: 7E0C4106
	v_exp_f32_e32 v7, v7                                       // 000000004FC4: 7E0E4107
	v_add_f32_e64 v4, v4, 1.0                                  // 000000004FC8: D1010004 0001E504
	v_add_f32_e64 v5, v5, 1.0                                  // 000000004FD0: D1010005 0001E505
	v_add_f32_e64 v6, v6, 1.0                                  // 000000004FD8: D1010006 0001E506
	v_add_f32_e64 v7, v7, 1.0                                  // 000000004FE0: D1010007 0001E507
	v_rcp_f32_e32 v4, v4                                       // 000000004FE8: 7E084504
	v_rcp_f32_e32 v5, v5                                       // 000000004FEC: 7E0A4505
	v_rcp_f32_e32 v6, v6                                       // 000000004FF0: 7E0C4506
	v_rcp_f32_e32 v7, v7                                       // 000000004FF4: 7E0E4507
	v_mul_f32_e32 v92, v92, v4                                 // 000000004FF8: 0AB8095C
	v_mul_f32_e32 v93, v93, v5                                 // 000000004FFC: 0ABA0B5D
	v_mul_f32_e32 v94, v94, v6                                 // 000000005000: 0ABC0D5E
	v_mul_f32_e32 v95, v95, v7                                 // 000000005004: 0ABE0F5F
	v_mul_f32_e32 v92, v92, v164                               // 000000005008: 0AB9495C
	v_mul_f32_e32 v93, v93, v165                               // 00000000500C: 0ABB4B5D
	v_mul_f32_e32 v94, v94, v166                               // 000000005010: 0ABD4D5E
	v_mul_f32_e32 v95, v95, v167                               // 000000005014: 0ABF4F5F
	v_pk_mul_f32 v[4:5], v[96:97], v[96:97]                    // 000000005018: D3B14004 1802C160
	v_pk_mul_f32 v[6:7], v[98:99], v[98:99]                    // 000000005020: D3B14006 1802C562
	v_pk_fma_f32 v[4:5], v[4:5], s[78:79], v[8:9]              // 000000005028: D3B04004 1C209D04
	v_pk_fma_f32 v[6:7], v[6:7], s[78:79], v[8:9]              // 000000005030: D3B04006 1C209D06
	v_pk_mul_f32 v[4:5], v[4:5], v[96:97]                      // 000000005038: D3B14004 1802C104
	v_pk_mul_f32 v[6:7], v[6:7], v[98:99]                      // 000000005040: D3B14006 1802C506
	v_pk_mul_f32 v[4:5], v[4:5], s[60:61]                      // 000000005048: D3B14004 18007904
	v_pk_mul_f32 v[6:7], v[6:7], s[60:61]                      // 000000005050: D3B14006 18007906
	v_exp_f32_e32 v4, v4                                       // 000000005058: 7E084104
	v_exp_f32_e32 v5, v5                                       // 00000000505C: 7E0A4105
	v_exp_f32_e32 v6, v6                                       // 000000005060: 7E0C4106
	v_exp_f32_e32 v7, v7                                       // 000000005064: 7E0E4107
	v_add_f32_e64 v4, v4, 1.0                                  // 000000005068: D1010004 0001E504
	v_add_f32_e64 v5, v5, 1.0                                  // 000000005070: D1010005 0001E505
	v_add_f32_e64 v6, v6, 1.0                                  // 000000005078: D1010006 0001E506
	v_add_f32_e64 v7, v7, 1.0                                  // 000000005080: D1010007 0001E507
	v_rcp_f32_e32 v4, v4                                       // 000000005088: 7E084504
	v_rcp_f32_e32 v5, v5                                       // 00000000508C: 7E0A4505
	v_rcp_f32_e32 v6, v6                                       // 000000005090: 7E0C4506
	v_rcp_f32_e32 v7, v7                                       // 000000005094: 7E0E4507
	v_mul_f32_e32 v96, v96, v4                                 // 000000005098: 0AC00960
	v_mul_f32_e32 v97, v97, v5                                 // 00000000509C: 0AC20B61
	v_mul_f32_e32 v98, v98, v6                                 // 0000000050A0: 0AC40D62
	v_mul_f32_e32 v99, v99, v7                                 // 0000000050A4: 0AC60F63
	v_mul_f32_e32 v96, v96, v168                               // 0000000050A8: 0AC15160
	v_mul_f32_e32 v97, v97, v169                               // 0000000050AC: 0AC35361
	v_mul_f32_e32 v98, v98, v170                               // 0000000050B0: 0AC55562
	v_mul_f32_e32 v99, v99, v171                               // 0000000050B4: 0AC75763
	v_pk_mul_f32 v[4:5], v[100:101], v[100:101]                // 0000000050B8: D3B14004 1802C964
	v_pk_mul_f32 v[6:7], v[102:103], v[102:103]                // 0000000050C0: D3B14006 1802CD66
	v_pk_fma_f32 v[4:5], v[4:5], s[78:79], v[8:9]              // 0000000050C8: D3B04004 1C209D04
	v_pk_fma_f32 v[6:7], v[6:7], s[78:79], v[8:9]              // 0000000050D0: D3B04006 1C209D06
	v_pk_mul_f32 v[4:5], v[4:5], v[100:101]                    // 0000000050D8: D3B14004 1802C904
	v_pk_mul_f32 v[6:7], v[6:7], v[102:103]                    // 0000000050E0: D3B14006 1802CD06
	v_pk_mul_f32 v[4:5], v[4:5], s[60:61]                      // 0000000050E8: D3B14004 18007904
	v_pk_mul_f32 v[6:7], v[6:7], s[60:61]                      // 0000000050F0: D3B14006 18007906
	v_exp_f32_e32 v4, v4                                       // 0000000050F8: 7E084104
	v_exp_f32_e32 v5, v5                                       // 0000000050FC: 7E0A4105
	v_exp_f32_e32 v6, v6                                       // 000000005100: 7E0C4106
	v_exp_f32_e32 v7, v7                                       // 000000005104: 7E0E4107
	v_add_f32_e64 v4, v4, 1.0                                  // 000000005108: D1010004 0001E504
	v_add_f32_e64 v5, v5, 1.0                                  // 000000005110: D1010005 0001E505
	v_add_f32_e64 v6, v6, 1.0                                  // 000000005118: D1010006 0001E506
	v_add_f32_e64 v7, v7, 1.0                                  // 000000005120: D1010007 0001E507
	v_rcp_f32_e32 v4, v4                                       // 000000005128: 7E084504
	v_rcp_f32_e32 v5, v5                                       // 00000000512C: 7E0A4505
	v_rcp_f32_e32 v6, v6                                       // 000000005130: 7E0C4506
	v_rcp_f32_e32 v7, v7                                       // 000000005134: 7E0E4507
	v_mul_f32_e32 v100, v100, v4                               // 000000005138: 0AC80964
	v_mul_f32_e32 v101, v101, v5                               // 00000000513C: 0ACA0B65
	v_mul_f32_e32 v102, v102, v6                               // 000000005140: 0ACC0D66
	v_mul_f32_e32 v103, v103, v7                               // 000000005144: 0ACE0F67
	v_mul_f32_e32 v100, v100, v172                             // 000000005148: 0AC95964
	v_mul_f32_e32 v101, v101, v173                             // 00000000514C: 0ACB5B65
	v_mul_f32_e32 v102, v102, v174                             // 000000005150: 0ACD5D66
	v_mul_f32_e32 v103, v103, v175                             // 000000005154: 0ACF5F67
	v_pk_mul_f32 v[4:5], v[104:105], v[104:105]                // 000000005158: D3B14004 1802D168
	v_pk_mul_f32 v[6:7], v[106:107], v[106:107]                // 000000005160: D3B14006 1802D56A
	v_pk_fma_f32 v[4:5], v[4:5], s[78:79], v[8:9]              // 000000005168: D3B04004 1C209D04
	v_pk_fma_f32 v[6:7], v[6:7], s[78:79], v[8:9]              // 000000005170: D3B04006 1C209D06
	v_pk_mul_f32 v[4:5], v[4:5], v[104:105]                    // 000000005178: D3B14004 1802D104
	v_pk_mul_f32 v[6:7], v[6:7], v[106:107]                    // 000000005180: D3B14006 1802D506
	v_pk_mul_f32 v[4:5], v[4:5], s[60:61]                      // 000000005188: D3B14004 18007904
	v_pk_mul_f32 v[6:7], v[6:7], s[60:61]                      // 000000005190: D3B14006 18007906
	v_exp_f32_e32 v4, v4                                       // 000000005198: 7E084104
	v_exp_f32_e32 v5, v5                                       // 00000000519C: 7E0A4105
	v_exp_f32_e32 v6, v6                                       // 0000000051A0: 7E0C4106
	v_exp_f32_e32 v7, v7                                       // 0000000051A4: 7E0E4107
	v_add_f32_e64 v4, v4, 1.0                                  // 0000000051A8: D1010004 0001E504
	v_add_f32_e64 v5, v5, 1.0                                  // 0000000051B0: D1010005 0001E505
	v_add_f32_e64 v6, v6, 1.0                                  // 0000000051B8: D1010006 0001E506
	v_add_f32_e64 v7, v7, 1.0                                  // 0000000051C0: D1010007 0001E507
	v_rcp_f32_e32 v4, v4                                       // 0000000051C8: 7E084504
	v_rcp_f32_e32 v5, v5                                       // 0000000051CC: 7E0A4505
	v_rcp_f32_e32 v6, v6                                       // 0000000051D0: 7E0C4506
	v_rcp_f32_e32 v7, v7                                       // 0000000051D4: 7E0E4507
	v_mul_f32_e32 v104, v104, v4                               // 0000000051D8: 0AD00968
	v_mul_f32_e32 v105, v105, v5                               // 0000000051DC: 0AD20B69
	v_mul_f32_e32 v106, v106, v6                               // 0000000051E0: 0AD40D6A
	v_mul_f32_e32 v107, v107, v7                               // 0000000051E4: 0AD60F6B
	v_mul_f32_e32 v104, v104, v176                             // 0000000051E8: 0AD16168
	v_mul_f32_e32 v105, v105, v177                             // 0000000051EC: 0AD36369
	v_mul_f32_e32 v106, v106, v178                             // 0000000051F0: 0AD5656A
	v_mul_f32_e32 v107, v107, v179                             // 0000000051F4: 0AD7676B
	v_pk_mul_f32 v[4:5], v[108:109], v[108:109]                // 0000000051F8: D3B14004 1802D96C
	v_pk_mul_f32 v[6:7], v[110:111], v[110:111]                // 000000005200: D3B14006 1802DD6E
	v_pk_fma_f32 v[4:5], v[4:5], s[78:79], v[8:9]              // 000000005208: D3B04004 1C209D04
	v_pk_fma_f32 v[6:7], v[6:7], s[78:79], v[8:9]              // 000000005210: D3B04006 1C209D06
	v_pk_mul_f32 v[4:5], v[4:5], v[108:109]                    // 000000005218: D3B14004 1802D904
	v_pk_mul_f32 v[6:7], v[6:7], v[110:111]                    // 000000005220: D3B14006 1802DD06
	v_pk_mul_f32 v[4:5], v[4:5], s[60:61]                      // 000000005228: D3B14004 18007904
	v_pk_mul_f32 v[6:7], v[6:7], s[60:61]                      // 000000005230: D3B14006 18007906
	v_exp_f32_e32 v4, v4                                       // 000000005238: 7E084104
	v_exp_f32_e32 v5, v5                                       // 00000000523C: 7E0A4105
	v_exp_f32_e32 v6, v6                                       // 000000005240: 7E0C4106
	v_exp_f32_e32 v7, v7                                       // 000000005244: 7E0E4107
	v_add_f32_e64 v4, v4, 1.0                                  // 000000005248: D1010004 0001E504
	v_add_f32_e64 v5, v5, 1.0                                  // 000000005250: D1010005 0001E505
	v_add_f32_e64 v6, v6, 1.0                                  // 000000005258: D1010006 0001E506
	v_add_f32_e64 v7, v7, 1.0                                  // 000000005260: D1010007 0001E507
	v_rcp_f32_e32 v4, v4                                       // 000000005268: 7E084504
	v_rcp_f32_e32 v5, v5                                       // 00000000526C: 7E0A4505
	v_rcp_f32_e32 v6, v6                                       // 000000005270: 7E0C4506
	v_rcp_f32_e32 v7, v7                                       // 000000005274: 7E0E4507
	v_mul_f32_e32 v108, v108, v4                               // 000000005278: 0AD8096C
	v_mul_f32_e32 v109, v109, v5                               // 00000000527C: 0ADA0B6D
	v_mul_f32_e32 v110, v110, v6                               // 000000005280: 0ADC0D6E
	v_mul_f32_e32 v111, v111, v7                               // 000000005284: 0ADE0F6F
	v_mul_f32_e32 v108, v108, v180                             // 000000005288: 0AD9696C
	v_mul_f32_e32 v109, v109, v181                             // 00000000528C: 0ADB6B6D
	v_mul_f32_e32 v110, v110, v182                             // 000000005290: 0ADD6D6E
	v_mul_f32_e32 v111, v111, v183                             // 000000005294: 0ADF6F6F
	v_pk_mul_f32 v[4:5], v[112:113], v[112:113]                // 000000005298: D3B14004 1802E170
	v_pk_mul_f32 v[6:7], v[114:115], v[114:115]                // 0000000052A0: D3B14006 1802E572
	v_pk_fma_f32 v[4:5], v[4:5], s[78:79], v[8:9]              // 0000000052A8: D3B04004 1C209D04
	v_pk_fma_f32 v[6:7], v[6:7], s[78:79], v[8:9]              // 0000000052B0: D3B04006 1C209D06
	v_pk_mul_f32 v[4:5], v[4:5], v[112:113]                    // 0000000052B8: D3B14004 1802E104
	v_pk_mul_f32 v[6:7], v[6:7], v[114:115]                    // 0000000052C0: D3B14006 1802E506
	v_pk_mul_f32 v[4:5], v[4:5], s[60:61]                      // 0000000052C8: D3B14004 18007904
	v_pk_mul_f32 v[6:7], v[6:7], s[60:61]                      // 0000000052D0: D3B14006 18007906
	v_exp_f32_e32 v4, v4                                       // 0000000052D8: 7E084104
	v_exp_f32_e32 v5, v5                                       // 0000000052DC: 7E0A4105
	v_exp_f32_e32 v6, v6                                       // 0000000052E0: 7E0C4106
	v_exp_f32_e32 v7, v7                                       // 0000000052E4: 7E0E4107
	v_add_f32_e64 v4, v4, 1.0                                  // 0000000052E8: D1010004 0001E504
	v_add_f32_e64 v5, v5, 1.0                                  // 0000000052F0: D1010005 0001E505
	v_add_f32_e64 v6, v6, 1.0                                  // 0000000052F8: D1010006 0001E506
	v_add_f32_e64 v7, v7, 1.0                                  // 000000005300: D1010007 0001E507
	v_rcp_f32_e32 v4, v4                                       // 000000005308: 7E084504
	v_rcp_f32_e32 v5, v5                                       // 00000000530C: 7E0A4505
	v_rcp_f32_e32 v6, v6                                       // 000000005310: 7E0C4506
	v_rcp_f32_e32 v7, v7                                       // 000000005314: 7E0E4507
	v_mul_f32_e32 v112, v112, v4                               // 000000005318: 0AE00970
	v_mul_f32_e32 v113, v113, v5                               // 00000000531C: 0AE20B71
	v_mul_f32_e32 v114, v114, v6                               // 000000005320: 0AE40D72
	v_mul_f32_e32 v115, v115, v7                               // 000000005324: 0AE60F73
	v_mul_f32_e32 v112, v112, v184                             // 000000005328: 0AE17170
	v_mul_f32_e32 v113, v113, v185                             // 00000000532C: 0AE37371
	v_mul_f32_e32 v114, v114, v186                             // 000000005330: 0AE57572
	v_mul_f32_e32 v115, v115, v187                             // 000000005334: 0AE77773
	v_pk_mul_f32 v[4:5], v[116:117], v[116:117]                // 000000005338: D3B14004 1802E974
	v_pk_mul_f32 v[6:7], v[118:119], v[118:119]                // 000000005340: D3B14006 1802ED76
	v_pk_fma_f32 v[4:5], v[4:5], s[78:79], v[8:9]              // 000000005348: D3B04004 1C209D04
	v_pk_fma_f32 v[6:7], v[6:7], s[78:79], v[8:9]              // 000000005350: D3B04006 1C209D06
	v_pk_mul_f32 v[4:5], v[4:5], v[116:117]                    // 000000005358: D3B14004 1802E904
	v_pk_mul_f32 v[6:7], v[6:7], v[118:119]                    // 000000005360: D3B14006 1802ED06
	v_pk_mul_f32 v[4:5], v[4:5], s[60:61]                      // 000000005368: D3B14004 18007904
	v_pk_mul_f32 v[6:7], v[6:7], s[60:61]                      // 000000005370: D3B14006 18007906
	v_exp_f32_e32 v4, v4                                       // 000000005378: 7E084104
	v_exp_f32_e32 v5, v5                                       // 00000000537C: 7E0A4105
	v_exp_f32_e32 v6, v6                                       // 000000005380: 7E0C4106
	v_exp_f32_e32 v7, v7                                       // 000000005384: 7E0E4107
	v_add_f32_e64 v4, v4, 1.0                                  // 000000005388: D1010004 0001E504
	v_add_f32_e64 v5, v5, 1.0                                  // 000000005390: D1010005 0001E505
	v_add_f32_e64 v6, v6, 1.0                                  // 000000005398: D1010006 0001E506
	v_add_f32_e64 v7, v7, 1.0                                  // 0000000053A0: D1010007 0001E507
	v_rcp_f32_e32 v4, v4                                       // 0000000053A8: 7E084504
	v_rcp_f32_e32 v5, v5                                       // 0000000053AC: 7E0A4505
	v_rcp_f32_e32 v6, v6                                       // 0000000053B0: 7E0C4506
	v_rcp_f32_e32 v7, v7                                       // 0000000053B4: 7E0E4507
	v_mul_f32_e32 v116, v116, v4                               // 0000000053B8: 0AE80974
	v_mul_f32_e32 v117, v117, v5                               // 0000000053BC: 0AEA0B75
	v_mul_f32_e32 v118, v118, v6                               // 0000000053C0: 0AEC0D76
	v_mul_f32_e32 v119, v119, v7                               // 0000000053C4: 0AEE0F77
	v_mul_f32_e32 v116, v116, v188                             // 0000000053C8: 0AE97974
	v_mul_f32_e32 v117, v117, v189                             // 0000000053CC: 0AEB7B75
	v_mul_f32_e32 v118, v118, v190                             // 0000000053D0: 0AED7D76
	v_mul_f32_e32 v119, v119, v191                             // 0000000053D4: 0AEF7F77
	v_pk_mul_f32 v[4:5], v[120:121], v[120:121]                // 0000000053D8: D3B14004 1802F178
	v_pk_mul_f32 v[6:7], v[122:123], v[122:123]                // 0000000053E0: D3B14006 1802F57A
	v_pk_fma_f32 v[4:5], v[4:5], s[78:79], v[8:9]              // 0000000053E8: D3B04004 1C209D04
	v_pk_fma_f32 v[6:7], v[6:7], s[78:79], v[8:9]              // 0000000053F0: D3B04006 1C209D06
	v_pk_mul_f32 v[4:5], v[4:5], v[120:121]                    // 0000000053F8: D3B14004 1802F104
	v_pk_mul_f32 v[6:7], v[6:7], v[122:123]                    // 000000005400: D3B14006 1802F506
	v_pk_mul_f32 v[4:5], v[4:5], s[60:61]                      // 000000005408: D3B14004 18007904
	v_pk_mul_f32 v[6:7], v[6:7], s[60:61]                      // 000000005410: D3B14006 18007906
	v_exp_f32_e32 v4, v4                                       // 000000005418: 7E084104
	v_exp_f32_e32 v5, v5                                       // 00000000541C: 7E0A4105
	v_exp_f32_e32 v6, v6                                       // 000000005420: 7E0C4106
	v_exp_f32_e32 v7, v7                                       // 000000005424: 7E0E4107
	v_add_f32_e64 v4, v4, 1.0                                  // 000000005428: D1010004 0001E504
	v_add_f32_e64 v5, v5, 1.0                                  // 000000005430: D1010005 0001E505
	v_add_f32_e64 v6, v6, 1.0                                  // 000000005438: D1010006 0001E506
	v_add_f32_e64 v7, v7, 1.0                                  // 000000005440: D1010007 0001E507
	v_rcp_f32_e32 v4, v4                                       // 000000005448: 7E084504
	v_rcp_f32_e32 v5, v5                                       // 00000000544C: 7E0A4505
	v_rcp_f32_e32 v6, v6                                       // 000000005450: 7E0C4506
	v_rcp_f32_e32 v7, v7                                       // 000000005454: 7E0E4507
	v_mul_f32_e32 v120, v120, v4                               // 000000005458: 0AF00978
	v_mul_f32_e32 v121, v121, v5                               // 00000000545C: 0AF20B79
	v_mul_f32_e32 v122, v122, v6                               // 000000005460: 0AF40D7A
	v_mul_f32_e32 v123, v123, v7                               // 000000005464: 0AF60F7B
	v_mul_f32_e32 v120, v120, v192                             // 000000005468: 0AF18178
	v_mul_f32_e32 v121, v121, v193                             // 00000000546C: 0AF38379
	v_mul_f32_e32 v122, v122, v194                             // 000000005470: 0AF5857A
	v_mul_f32_e32 v123, v123, v195                             // 000000005474: 0AF7877B
	v_pk_mul_f32 v[4:5], v[124:125], v[124:125]                // 000000005478: D3B14004 1802F97C
	v_pk_mul_f32 v[6:7], v[126:127], v[126:127]                // 000000005480: D3B14006 1802FD7E
	v_pk_fma_f32 v[4:5], v[4:5], s[78:79], v[8:9]              // 000000005488: D3B04004 1C209D04
	v_pk_fma_f32 v[6:7], v[6:7], s[78:79], v[8:9]              // 000000005490: D3B04006 1C209D06
	v_pk_mul_f32 v[4:5], v[4:5], v[124:125]                    // 000000005498: D3B14004 1802F904
	v_pk_mul_f32 v[6:7], v[6:7], v[126:127]                    // 0000000054A0: D3B14006 1802FD06
	v_pk_mul_f32 v[4:5], v[4:5], s[60:61]                      // 0000000054A8: D3B14004 18007904
	v_pk_mul_f32 v[6:7], v[6:7], s[60:61]                      // 0000000054B0: D3B14006 18007906
	v_exp_f32_e32 v4, v4                                       // 0000000054B8: 7E084104
	v_exp_f32_e32 v5, v5                                       // 0000000054BC: 7E0A4105
	v_exp_f32_e32 v6, v6                                       // 0000000054C0: 7E0C4106
	v_exp_f32_e32 v7, v7                                       // 0000000054C4: 7E0E4107
	v_add_f32_e64 v4, v4, 1.0                                  // 0000000054C8: D1010004 0001E504
	v_add_f32_e64 v5, v5, 1.0                                  // 0000000054D0: D1010005 0001E505
	v_add_f32_e64 v6, v6, 1.0                                  // 0000000054D8: D1010006 0001E506
	v_add_f32_e64 v7, v7, 1.0                                  // 0000000054E0: D1010007 0001E507
	v_rcp_f32_e32 v4, v4                                       // 0000000054E8: 7E084504
	v_rcp_f32_e32 v5, v5                                       // 0000000054EC: 7E0A4505
	v_rcp_f32_e32 v6, v6                                       // 0000000054F0: 7E0C4506
	v_rcp_f32_e32 v7, v7                                       // 0000000054F4: 7E0E4507
	v_mul_f32_e32 v124, v124, v4                               // 0000000054F8: 0AF8097C
	v_mul_f32_e32 v125, v125, v5                               // 0000000054FC: 0AFA0B7D
	v_mul_f32_e32 v126, v126, v6                               // 000000005500: 0AFC0D7E
	v_mul_f32_e32 v127, v127, v7                               // 000000005504: 0AFE0F7F
	v_mul_f32_e32 v124, v124, v196                             // 000000005508: 0AF9897C
	v_mul_f32_e32 v125, v125, v197                             // 00000000550C: 0AFB8B7D
	v_mul_f32_e32 v126, v126, v198                             // 000000005510: 0AFD8D7E
	v_mul_f32_e32 v127, v127, v199                             // 000000005514: 0AFF8F7F
	v_pk_mul_f32 v[4:5], v[128:129], v[128:129]                // 000000005518: D3B14004 18030180
	v_pk_mul_f32 v[6:7], v[130:131], v[130:131]                // 000000005520: D3B14006 18030582
	v_pk_fma_f32 v[4:5], v[4:5], s[78:79], v[8:9]              // 000000005528: D3B04004 1C209D04
	v_pk_fma_f32 v[6:7], v[6:7], s[78:79], v[8:9]              // 000000005530: D3B04006 1C209D06
	v_pk_mul_f32 v[4:5], v[4:5], v[128:129]                    // 000000005538: D3B14004 18030104
	v_pk_mul_f32 v[6:7], v[6:7], v[130:131]                    // 000000005540: D3B14006 18030506
	v_pk_mul_f32 v[4:5], v[4:5], s[60:61]                      // 000000005548: D3B14004 18007904
	v_pk_mul_f32 v[6:7], v[6:7], s[60:61]                      // 000000005550: D3B14006 18007906
	v_exp_f32_e32 v4, v4                                       // 000000005558: 7E084104
	v_exp_f32_e32 v5, v5                                       // 00000000555C: 7E0A4105
	v_exp_f32_e32 v6, v6                                       // 000000005560: 7E0C4106
	v_exp_f32_e32 v7, v7                                       // 000000005564: 7E0E4107
	v_add_f32_e64 v4, v4, 1.0                                  // 000000005568: D1010004 0001E504
	v_add_f32_e64 v5, v5, 1.0                                  // 000000005570: D1010005 0001E505
	v_add_f32_e64 v6, v6, 1.0                                  // 000000005578: D1010006 0001E506
	v_add_f32_e64 v7, v7, 1.0                                  // 000000005580: D1010007 0001E507
	v_rcp_f32_e32 v4, v4                                       // 000000005588: 7E084504
	v_rcp_f32_e32 v5, v5                                       // 00000000558C: 7E0A4505
	v_rcp_f32_e32 v6, v6                                       // 000000005590: 7E0C4506
	v_rcp_f32_e32 v7, v7                                       // 000000005594: 7E0E4507
	v_mul_f32_e32 v128, v128, v4                               // 000000005598: 0B000980
	v_mul_f32_e32 v129, v129, v5                               // 00000000559C: 0B020B81
	v_mul_f32_e32 v130, v130, v6                               // 0000000055A0: 0B040D82
	v_mul_f32_e32 v131, v131, v7                               // 0000000055A4: 0B060F83
	v_mul_f32_e32 v128, v128, v200                             // 0000000055A8: 0B019180
	v_mul_f32_e32 v129, v129, v201                             // 0000000055AC: 0B039381
	v_mul_f32_e32 v130, v130, v202                             // 0000000055B0: 0B059582
	v_mul_f32_e32 v131, v131, v203                             // 0000000055B4: 0B079783
	v_pk_mul_f32 v[4:5], v[132:133], v[132:133]                // 0000000055B8: D3B14004 18030984
	v_pk_mul_f32 v[6:7], v[134:135], v[134:135]                // 0000000055C0: D3B14006 18030D86
	v_pk_fma_f32 v[4:5], v[4:5], s[78:79], v[8:9]              // 0000000055C8: D3B04004 1C209D04
	v_pk_fma_f32 v[6:7], v[6:7], s[78:79], v[8:9]              // 0000000055D0: D3B04006 1C209D06
	v_pk_mul_f32 v[4:5], v[4:5], v[132:133]                    // 0000000055D8: D3B14004 18030904
	v_pk_mul_f32 v[6:7], v[6:7], v[134:135]                    // 0000000055E0: D3B14006 18030D06
	v_pk_mul_f32 v[4:5], v[4:5], s[60:61]                      // 0000000055E8: D3B14004 18007904
	v_pk_mul_f32 v[6:7], v[6:7], s[60:61]                      // 0000000055F0: D3B14006 18007906
	v_exp_f32_e32 v4, v4                                       // 0000000055F8: 7E084104
	v_exp_f32_e32 v5, v5                                       // 0000000055FC: 7E0A4105
	v_exp_f32_e32 v6, v6                                       // 000000005600: 7E0C4106
	v_exp_f32_e32 v7, v7                                       // 000000005604: 7E0E4107
	v_add_f32_e64 v4, v4, 1.0                                  // 000000005608: D1010004 0001E504
	v_add_f32_e64 v5, v5, 1.0                                  // 000000005610: D1010005 0001E505
	v_add_f32_e64 v6, v6, 1.0                                  // 000000005618: D1010006 0001E506
	v_add_f32_e64 v7, v7, 1.0                                  // 000000005620: D1010007 0001E507
	v_rcp_f32_e32 v4, v4                                       // 000000005628: 7E084504
	v_rcp_f32_e32 v5, v5                                       // 00000000562C: 7E0A4505
	v_rcp_f32_e32 v6, v6                                       // 000000005630: 7E0C4506
	v_rcp_f32_e32 v7, v7                                       // 000000005634: 7E0E4507
	v_mul_f32_e32 v132, v132, v4                               // 000000005638: 0B080984
	v_mul_f32_e32 v133, v133, v5                               // 00000000563C: 0B0A0B85
	v_mul_f32_e32 v134, v134, v6                               // 000000005640: 0B0C0D86
	v_mul_f32_e32 v135, v135, v7                               // 000000005644: 0B0E0F87
	v_mul_f32_e32 v132, v132, v204                             // 000000005648: 0B099984
	v_mul_f32_e32 v133, v133, v205                             // 00000000564C: 0B0B9B85
	v_mul_f32_e32 v134, v134, v206                             // 000000005650: 0B0D9D86
	v_mul_f32_e32 v135, v135, v207                             // 000000005654: 0B0F9F87
	v_pk_mul_f32 v[4:5], v[136:137], v[136:137]                // 000000005658: D3B14004 18031188
	v_pk_mul_f32 v[6:7], v[138:139], v[138:139]                // 000000005660: D3B14006 1803158A
	v_pk_fma_f32 v[4:5], v[4:5], s[78:79], v[8:9]              // 000000005668: D3B04004 1C209D04
	v_pk_fma_f32 v[6:7], v[6:7], s[78:79], v[8:9]              // 000000005670: D3B04006 1C209D06
	v_pk_mul_f32 v[4:5], v[4:5], v[136:137]                    // 000000005678: D3B14004 18031104
	v_pk_mul_f32 v[6:7], v[6:7], v[138:139]                    // 000000005680: D3B14006 18031506
	v_pk_mul_f32 v[4:5], v[4:5], s[60:61]                      // 000000005688: D3B14004 18007904
	v_pk_mul_f32 v[6:7], v[6:7], s[60:61]                      // 000000005690: D3B14006 18007906
	v_exp_f32_e32 v4, v4                                       // 000000005698: 7E084104
	v_exp_f32_e32 v5, v5                                       // 00000000569C: 7E0A4105
	v_exp_f32_e32 v6, v6                                       // 0000000056A0: 7E0C4106
	v_exp_f32_e32 v7, v7                                       // 0000000056A4: 7E0E4107
	v_add_f32_e64 v4, v4, 1.0                                  // 0000000056A8: D1010004 0001E504
	v_add_f32_e64 v5, v5, 1.0                                  // 0000000056B0: D1010005 0001E505
	v_add_f32_e64 v6, v6, 1.0                                  // 0000000056B8: D1010006 0001E506
	v_add_f32_e64 v7, v7, 1.0                                  // 0000000056C0: D1010007 0001E507
	v_rcp_f32_e32 v4, v4                                       // 0000000056C8: 7E084504
	v_rcp_f32_e32 v5, v5                                       // 0000000056CC: 7E0A4505
	v_rcp_f32_e32 v6, v6                                       // 0000000056D0: 7E0C4506
	v_rcp_f32_e32 v7, v7                                       // 0000000056D4: 7E0E4507
	v_mul_f32_e32 v136, v136, v4                               // 0000000056D8: 0B100988
	v_mul_f32_e32 v137, v137, v5                               // 0000000056DC: 0B120B89
	v_mul_f32_e32 v138, v138, v6                               // 0000000056E0: 0B140D8A
	v_mul_f32_e32 v139, v139, v7                               // 0000000056E4: 0B160F8B
	v_mul_f32_e32 v136, v136, v208                             // 0000000056E8: 0B11A188
	v_mul_f32_e32 v137, v137, v209                             // 0000000056EC: 0B13A389
	v_mul_f32_e32 v138, v138, v210                             // 0000000056F0: 0B15A58A
	v_mul_f32_e32 v139, v139, v211                             // 0000000056F4: 0B17A78B
	v_pk_mul_f32 v[4:5], v[140:141], v[140:141]                // 0000000056F8: D3B14004 1803198C
	v_pk_mul_f32 v[6:7], v[142:143], v[142:143]                // 000000005700: D3B14006 18031D8E
	v_pk_fma_f32 v[4:5], v[4:5], s[78:79], v[8:9]              // 000000005708: D3B04004 1C209D04
	v_pk_fma_f32 v[6:7], v[6:7], s[78:79], v[8:9]              // 000000005710: D3B04006 1C209D06
	v_pk_mul_f32 v[4:5], v[4:5], v[140:141]                    // 000000005718: D3B14004 18031904
	v_pk_mul_f32 v[6:7], v[6:7], v[142:143]                    // 000000005720: D3B14006 18031D06
	v_pk_mul_f32 v[4:5], v[4:5], s[60:61]                      // 000000005728: D3B14004 18007904
	v_pk_mul_f32 v[6:7], v[6:7], s[60:61]                      // 000000005730: D3B14006 18007906
	v_exp_f32_e32 v4, v4                                       // 000000005738: 7E084104
	v_exp_f32_e32 v5, v5                                       // 00000000573C: 7E0A4105
	v_exp_f32_e32 v6, v6                                       // 000000005740: 7E0C4106
	v_exp_f32_e32 v7, v7                                       // 000000005744: 7E0E4107
	v_add_f32_e64 v4, v4, 1.0                                  // 000000005748: D1010004 0001E504
	v_add_f32_e64 v5, v5, 1.0                                  // 000000005750: D1010005 0001E505
	v_add_f32_e64 v6, v6, 1.0                                  // 000000005758: D1010006 0001E506
	v_add_f32_e64 v7, v7, 1.0                                  // 000000005760: D1010007 0001E507
	v_rcp_f32_e32 v4, v4                                       // 000000005768: 7E084504
	v_rcp_f32_e32 v5, v5                                       // 00000000576C: 7E0A4505
	v_rcp_f32_e32 v6, v6                                       // 000000005770: 7E0C4506
	v_rcp_f32_e32 v7, v7                                       // 000000005774: 7E0E4507
	v_mul_f32_e32 v140, v140, v4                               // 000000005778: 0B18098C
	v_mul_f32_e32 v141, v141, v5                               // 00000000577C: 0B1A0B8D
	v_mul_f32_e32 v142, v142, v6                               // 000000005780: 0B1C0D8E
	v_mul_f32_e32 v143, v143, v7                               // 000000005784: 0B1E0F8F
	v_mul_f32_e32 v140, v140, v212                             // 000000005788: 0B19A98C
	v_mul_f32_e32 v141, v141, v213                             // 00000000578C: 0B1BAB8D
	v_mul_f32_e32 v142, v142, v214                             // 000000005790: 0B1DAD8E
	v_mul_f32_e32 v143, v143, v215                             // 000000005794: 0B1FAF8F
	v_pk_mul_f32 v[4:5], v[144:145], v[144:145]                // 000000005798: D3B14004 18032190
	v_pk_mul_f32 v[6:7], v[146:147], v[146:147]                // 0000000057A0: D3B14006 18032592
	v_pk_fma_f32 v[4:5], v[4:5], s[78:79], v[8:9]              // 0000000057A8: D3B04004 1C209D04
	v_pk_fma_f32 v[6:7], v[6:7], s[78:79], v[8:9]              // 0000000057B0: D3B04006 1C209D06
	v_pk_mul_f32 v[4:5], v[4:5], v[144:145]                    // 0000000057B8: D3B14004 18032104
	v_pk_mul_f32 v[6:7], v[6:7], v[146:147]                    // 0000000057C0: D3B14006 18032506
	v_pk_mul_f32 v[4:5], v[4:5], s[60:61]                      // 0000000057C8: D3B14004 18007904
	v_pk_mul_f32 v[6:7], v[6:7], s[60:61]                      // 0000000057D0: D3B14006 18007906
	v_exp_f32_e32 v4, v4                                       // 0000000057D8: 7E084104
	v_exp_f32_e32 v5, v5                                       // 0000000057DC: 7E0A4105
	v_exp_f32_e32 v6, v6                                       // 0000000057E0: 7E0C4106
	v_exp_f32_e32 v7, v7                                       // 0000000057E4: 7E0E4107
	v_add_f32_e64 v4, v4, 1.0                                  // 0000000057E8: D1010004 0001E504
	v_add_f32_e64 v5, v5, 1.0                                  // 0000000057F0: D1010005 0001E505
	v_add_f32_e64 v6, v6, 1.0                                  // 0000000057F8: D1010006 0001E506
	v_add_f32_e64 v7, v7, 1.0                                  // 000000005800: D1010007 0001E507
	v_rcp_f32_e32 v4, v4                                       // 000000005808: 7E084504
	v_rcp_f32_e32 v5, v5                                       // 00000000580C: 7E0A4505
	v_rcp_f32_e32 v6, v6                                       // 000000005810: 7E0C4506
	v_rcp_f32_e32 v7, v7                                       // 000000005814: 7E0E4507
	v_mul_f32_e32 v144, v144, v4                               // 000000005818: 0B200990
	v_mul_f32_e32 v145, v145, v5                               // 00000000581C: 0B220B91
	v_mul_f32_e32 v146, v146, v6                               // 000000005820: 0B240D92
	v_mul_f32_e32 v147, v147, v7                               // 000000005824: 0B260F93
	v_mul_f32_e32 v144, v144, v216                             // 000000005828: 0B21B190
	v_mul_f32_e32 v145, v145, v217                             // 00000000582C: 0B23B391
	v_mul_f32_e32 v146, v146, v218                             // 000000005830: 0B25B592
	v_mul_f32_e32 v147, v147, v219                             // 000000005834: 0B27B793
	v_pk_mul_f32 v[4:5], v[148:149], v[148:149]                // 000000005838: D3B14004 18032994
	v_pk_mul_f32 v[6:7], v[150:151], v[150:151]                // 000000005840: D3B14006 18032D96
	v_pk_fma_f32 v[4:5], v[4:5], s[78:79], v[8:9]              // 000000005848: D3B04004 1C209D04
	v_pk_fma_f32 v[6:7], v[6:7], s[78:79], v[8:9]              // 000000005850: D3B04006 1C209D06
	v_pk_mul_f32 v[4:5], v[4:5], v[148:149]                    // 000000005858: D3B14004 18032904
	v_pk_mul_f32 v[6:7], v[6:7], v[150:151]                    // 000000005860: D3B14006 18032D06
	v_pk_mul_f32 v[4:5], v[4:5], s[60:61]                      // 000000005868: D3B14004 18007904
	v_pk_mul_f32 v[6:7], v[6:7], s[60:61]                      // 000000005870: D3B14006 18007906
	v_exp_f32_e32 v4, v4                                       // 000000005878: 7E084104
	v_exp_f32_e32 v5, v5                                       // 00000000587C: 7E0A4105
	v_exp_f32_e32 v6, v6                                       // 000000005880: 7E0C4106
	v_exp_f32_e32 v7, v7                                       // 000000005884: 7E0E4107
	v_add_f32_e64 v4, v4, 1.0                                  // 000000005888: D1010004 0001E504
	v_add_f32_e64 v5, v5, 1.0                                  // 000000005890: D1010005 0001E505
	v_add_f32_e64 v6, v6, 1.0                                  // 000000005898: D1010006 0001E506
	v_add_f32_e64 v7, v7, 1.0                                  // 0000000058A0: D1010007 0001E507
	v_rcp_f32_e32 v4, v4                                       // 0000000058A8: 7E084504
	v_rcp_f32_e32 v5, v5                                       // 0000000058AC: 7E0A4505
	v_rcp_f32_e32 v6, v6                                       // 0000000058B0: 7E0C4506
	v_rcp_f32_e32 v7, v7                                       // 0000000058B4: 7E0E4507
	v_mul_f32_e32 v148, v148, v4                               // 0000000058B8: 0B280994
	v_mul_f32_e32 v149, v149, v5                               // 0000000058BC: 0B2A0B95
	v_mul_f32_e32 v150, v150, v6                               // 0000000058C0: 0B2C0D96
	v_mul_f32_e32 v151, v151, v7                               // 0000000058C4: 0B2E0F97
	v_mul_f32_e32 v148, v148, v220                             // 0000000058C8: 0B29B994
	v_mul_f32_e32 v149, v149, v221                             // 0000000058CC: 0B2BBB95
	v_mul_f32_e32 v150, v150, v222                             // 0000000058D0: 0B2DBD96
	v_mul_f32_e32 v151, v151, v223                             // 0000000058D4: 0B2FBF97
	v_pk_mul_f32 v[4:5], v[152:153], v[152:153]                // 0000000058D8: D3B14004 18033198
	v_pk_mul_f32 v[6:7], v[154:155], v[154:155]                // 0000000058E0: D3B14006 1803359A
	v_pk_fma_f32 v[4:5], v[4:5], s[78:79], v[8:9]              // 0000000058E8: D3B04004 1C209D04
	v_pk_fma_f32 v[6:7], v[6:7], s[78:79], v[8:9]              // 0000000058F0: D3B04006 1C209D06
	v_pk_mul_f32 v[4:5], v[4:5], v[152:153]                    // 0000000058F8: D3B14004 18033104
	v_pk_mul_f32 v[6:7], v[6:7], v[154:155]                    // 000000005900: D3B14006 18033506
	v_pk_mul_f32 v[4:5], v[4:5], s[60:61]                      // 000000005908: D3B14004 18007904
	v_pk_mul_f32 v[6:7], v[6:7], s[60:61]                      // 000000005910: D3B14006 18007906
	v_exp_f32_e32 v4, v4                                       // 000000005918: 7E084104
	v_exp_f32_e32 v5, v5                                       // 00000000591C: 7E0A4105
	v_exp_f32_e32 v6, v6                                       // 000000005920: 7E0C4106
	v_exp_f32_e32 v7, v7                                       // 000000005924: 7E0E4107
	v_add_f32_e64 v4, v4, 1.0                                  // 000000005928: D1010004 0001E504
	v_add_f32_e64 v5, v5, 1.0                                  // 000000005930: D1010005 0001E505
	v_add_f32_e64 v6, v6, 1.0                                  // 000000005938: D1010006 0001E506
	v_add_f32_e64 v7, v7, 1.0                                  // 000000005940: D1010007 0001E507
	v_rcp_f32_e32 v4, v4                                       // 000000005948: 7E084504
	v_rcp_f32_e32 v5, v5                                       // 00000000594C: 7E0A4505
	v_rcp_f32_e32 v6, v6                                       // 000000005950: 7E0C4506
	v_rcp_f32_e32 v7, v7                                       // 000000005954: 7E0E4507
	v_mul_f32_e32 v152, v152, v4                               // 000000005958: 0B300998
	v_mul_f32_e32 v153, v153, v5                               // 00000000595C: 0B320B99
	v_mul_f32_e32 v154, v154, v6                               // 000000005960: 0B340D9A
	v_mul_f32_e32 v155, v155, v7                               // 000000005964: 0B360F9B
	v_mul_f32_e32 v152, v152, v224                             // 000000005968: 0B31C198
	v_mul_f32_e32 v153, v153, v225                             // 00000000596C: 0B33C399
	v_mul_f32_e32 v154, v154, v226                             // 000000005970: 0B35C59A
	v_mul_f32_e32 v155, v155, v227                             // 000000005974: 0B37C79B
	s_branch label_0E1F                                        // 000000005978: BF820240

000000000000597c <label_0BDF>:
	v_mul_f32_e64 v4, -v84, s6                                 // 00000000597C: D1050004 20000D54
	v_mul_f32_e64 v5, -v85, s6                                 // 000000005984: D1050005 20000D55
	v_mul_f32_e64 v6, -v86, s6                                 // 00000000598C: D1050006 20000D56
	v_mul_f32_e64 v7, -v87, s6                                 // 000000005994: D1050007 20000D57
	v_exp_f32_e32 v4, v4                                       // 00000000599C: 7E084104
	v_exp_f32_e32 v5, v5                                       // 0000000059A0: 7E0A4105
	v_exp_f32_e32 v6, v6                                       // 0000000059A4: 7E0C4106
	v_exp_f32_e32 v7, v7                                       // 0000000059A8: 7E0E4107
	v_add_f32_e64 v4, v4, 1.0                                  // 0000000059AC: D1010004 0001E504
	v_add_f32_e64 v5, v5, 1.0                                  // 0000000059B4: D1010005 0001E505
	v_add_f32_e64 v6, v6, 1.0                                  // 0000000059BC: D1010006 0001E506
	v_add_f32_e64 v7, v7, 1.0                                  // 0000000059C4: D1010007 0001E507
	v_rcp_f32_e32 v4, v4                                       // 0000000059CC: 7E084504
	v_rcp_f32_e32 v5, v5                                       // 0000000059D0: 7E0A4505
	v_rcp_f32_e32 v6, v6                                       // 0000000059D4: 7E0C4506
	v_rcp_f32_e32 v7, v7                                       // 0000000059D8: 7E0E4507
	v_mul_f32_e32 v84, v84, v4                                 // 0000000059DC: 0AA80954
	v_mul_f32_e32 v85, v85, v5                                 // 0000000059E0: 0AAA0B55
	v_mul_f32_e32 v86, v86, v6                                 // 0000000059E4: 0AAC0D56
	v_mul_f32_e32 v87, v87, v7                                 // 0000000059E8: 0AAE0F57
	v_mul_f32_e32 v84, v84, v156                               // 0000000059EC: 0AA93954
	v_mul_f32_e32 v85, v85, v157                               // 0000000059F0: 0AAB3B55
	v_mul_f32_e32 v86, v86, v158                               // 0000000059F4: 0AAD3D56
	v_mul_f32_e32 v87, v87, v159                               // 0000000059F8: 0AAF3F57
	v_mul_f32_e64 v4, -v88, s6                                 // 0000000059FC: D1050004 20000D58
	v_mul_f32_e64 v5, -v89, s6                                 // 000000005A04: D1050005 20000D59
	v_mul_f32_e64 v6, -v90, s6                                 // 000000005A0C: D1050006 20000D5A
	v_mul_f32_e64 v7, -v91, s6                                 // 000000005A14: D1050007 20000D5B
	v_exp_f32_e32 v4, v4                                       // 000000005A1C: 7E084104
	v_exp_f32_e32 v5, v5                                       // 000000005A20: 7E0A4105
	v_exp_f32_e32 v6, v6                                       // 000000005A24: 7E0C4106
	v_exp_f32_e32 v7, v7                                       // 000000005A28: 7E0E4107
	v_add_f32_e64 v4, v4, 1.0                                  // 000000005A2C: D1010004 0001E504
	v_add_f32_e64 v5, v5, 1.0                                  // 000000005A34: D1010005 0001E505
	v_add_f32_e64 v6, v6, 1.0                                  // 000000005A3C: D1010006 0001E506
	v_add_f32_e64 v7, v7, 1.0                                  // 000000005A44: D1010007 0001E507
	v_rcp_f32_e32 v4, v4                                       // 000000005A4C: 7E084504
	v_rcp_f32_e32 v5, v5                                       // 000000005A50: 7E0A4505
	v_rcp_f32_e32 v6, v6                                       // 000000005A54: 7E0C4506
	v_rcp_f32_e32 v7, v7                                       // 000000005A58: 7E0E4507
	v_mul_f32_e32 v88, v88, v4                                 // 000000005A5C: 0AB00958
	v_mul_f32_e32 v89, v89, v5                                 // 000000005A60: 0AB20B59
	v_mul_f32_e32 v90, v90, v6                                 // 000000005A64: 0AB40D5A
	v_mul_f32_e32 v91, v91, v7                                 // 000000005A68: 0AB60F5B
	v_mul_f32_e32 v88, v88, v160                               // 000000005A6C: 0AB14158
	v_mul_f32_e32 v89, v89, v161                               // 000000005A70: 0AB34359
	v_mul_f32_e32 v90, v90, v162                               // 000000005A74: 0AB5455A
	v_mul_f32_e32 v91, v91, v163                               // 000000005A78: 0AB7475B
	v_mul_f32_e64 v4, -v92, s6                                 // 000000005A7C: D1050004 20000D5C
	v_mul_f32_e64 v5, -v93, s6                                 // 000000005A84: D1050005 20000D5D
	v_mul_f32_e64 v6, -v94, s6                                 // 000000005A8C: D1050006 20000D5E
	v_mul_f32_e64 v7, -v95, s6                                 // 000000005A94: D1050007 20000D5F
	v_exp_f32_e32 v4, v4                                       // 000000005A9C: 7E084104
	v_exp_f32_e32 v5, v5                                       // 000000005AA0: 7E0A4105
	v_exp_f32_e32 v6, v6                                       // 000000005AA4: 7E0C4106
	v_exp_f32_e32 v7, v7                                       // 000000005AA8: 7E0E4107
	v_add_f32_e64 v4, v4, 1.0                                  // 000000005AAC: D1010004 0001E504
	v_add_f32_e64 v5, v5, 1.0                                  // 000000005AB4: D1010005 0001E505
	v_add_f32_e64 v6, v6, 1.0                                  // 000000005ABC: D1010006 0001E506
	v_add_f32_e64 v7, v7, 1.0                                  // 000000005AC4: D1010007 0001E507
	v_rcp_f32_e32 v4, v4                                       // 000000005ACC: 7E084504
	v_rcp_f32_e32 v5, v5                                       // 000000005AD0: 7E0A4505
	v_rcp_f32_e32 v6, v6                                       // 000000005AD4: 7E0C4506
	v_rcp_f32_e32 v7, v7                                       // 000000005AD8: 7E0E4507
	v_mul_f32_e32 v92, v92, v4                                 // 000000005ADC: 0AB8095C
	v_mul_f32_e32 v93, v93, v5                                 // 000000005AE0: 0ABA0B5D
	v_mul_f32_e32 v94, v94, v6                                 // 000000005AE4: 0ABC0D5E
	v_mul_f32_e32 v95, v95, v7                                 // 000000005AE8: 0ABE0F5F
	v_mul_f32_e32 v92, v92, v164                               // 000000005AEC: 0AB9495C
	v_mul_f32_e32 v93, v93, v165                               // 000000005AF0: 0ABB4B5D
	v_mul_f32_e32 v94, v94, v166                               // 000000005AF4: 0ABD4D5E
	v_mul_f32_e32 v95, v95, v167                               // 000000005AF8: 0ABF4F5F
	v_mul_f32_e64 v4, -v96, s6                                 // 000000005AFC: D1050004 20000D60
	v_mul_f32_e64 v5, -v97, s6                                 // 000000005B04: D1050005 20000D61
	v_mul_f32_e64 v6, -v98, s6                                 // 000000005B0C: D1050006 20000D62
	v_mul_f32_e64 v7, -v99, s6                                 // 000000005B14: D1050007 20000D63
	v_exp_f32_e32 v4, v4                                       // 000000005B1C: 7E084104
	v_exp_f32_e32 v5, v5                                       // 000000005B20: 7E0A4105
	v_exp_f32_e32 v6, v6                                       // 000000005B24: 7E0C4106
	v_exp_f32_e32 v7, v7                                       // 000000005B28: 7E0E4107
	v_add_f32_e64 v4, v4, 1.0                                  // 000000005B2C: D1010004 0001E504
	v_add_f32_e64 v5, v5, 1.0                                  // 000000005B34: D1010005 0001E505
	v_add_f32_e64 v6, v6, 1.0                                  // 000000005B3C: D1010006 0001E506
	v_add_f32_e64 v7, v7, 1.0                                  // 000000005B44: D1010007 0001E507
	v_rcp_f32_e32 v4, v4                                       // 000000005B4C: 7E084504
	v_rcp_f32_e32 v5, v5                                       // 000000005B50: 7E0A4505
	v_rcp_f32_e32 v6, v6                                       // 000000005B54: 7E0C4506
	v_rcp_f32_e32 v7, v7                                       // 000000005B58: 7E0E4507
	v_mul_f32_e32 v96, v96, v4                                 // 000000005B5C: 0AC00960
	v_mul_f32_e32 v97, v97, v5                                 // 000000005B60: 0AC20B61
	v_mul_f32_e32 v98, v98, v6                                 // 000000005B64: 0AC40D62
	v_mul_f32_e32 v99, v99, v7                                 // 000000005B68: 0AC60F63
	v_mul_f32_e32 v96, v96, v168                               // 000000005B6C: 0AC15160
	v_mul_f32_e32 v97, v97, v169                               // 000000005B70: 0AC35361
	v_mul_f32_e32 v98, v98, v170                               // 000000005B74: 0AC55562
	v_mul_f32_e32 v99, v99, v171                               // 000000005B78: 0AC75763
	v_mul_f32_e64 v4, -v100, s6                                // 000000005B7C: D1050004 20000D64
	v_mul_f32_e64 v5, -v101, s6                                // 000000005B84: D1050005 20000D65
	v_mul_f32_e64 v6, -v102, s6                                // 000000005B8C: D1050006 20000D66
	v_mul_f32_e64 v7, -v103, s6                                // 000000005B94: D1050007 20000D67
	v_exp_f32_e32 v4, v4                                       // 000000005B9C: 7E084104
	v_exp_f32_e32 v5, v5                                       // 000000005BA0: 7E0A4105
	v_exp_f32_e32 v6, v6                                       // 000000005BA4: 7E0C4106
	v_exp_f32_e32 v7, v7                                       // 000000005BA8: 7E0E4107
	v_add_f32_e64 v4, v4, 1.0                                  // 000000005BAC: D1010004 0001E504
	v_add_f32_e64 v5, v5, 1.0                                  // 000000005BB4: D1010005 0001E505
	v_add_f32_e64 v6, v6, 1.0                                  // 000000005BBC: D1010006 0001E506
	v_add_f32_e64 v7, v7, 1.0                                  // 000000005BC4: D1010007 0001E507
	v_rcp_f32_e32 v4, v4                                       // 000000005BCC: 7E084504
	v_rcp_f32_e32 v5, v5                                       // 000000005BD0: 7E0A4505
	v_rcp_f32_e32 v6, v6                                       // 000000005BD4: 7E0C4506
	v_rcp_f32_e32 v7, v7                                       // 000000005BD8: 7E0E4507
	v_mul_f32_e32 v100, v100, v4                               // 000000005BDC: 0AC80964
	v_mul_f32_e32 v101, v101, v5                               // 000000005BE0: 0ACA0B65
	v_mul_f32_e32 v102, v102, v6                               // 000000005BE4: 0ACC0D66
	v_mul_f32_e32 v103, v103, v7                               // 000000005BE8: 0ACE0F67
	v_mul_f32_e32 v100, v100, v172                             // 000000005BEC: 0AC95964
	v_mul_f32_e32 v101, v101, v173                             // 000000005BF0: 0ACB5B65
	v_mul_f32_e32 v102, v102, v174                             // 000000005BF4: 0ACD5D66
	v_mul_f32_e32 v103, v103, v175                             // 000000005BF8: 0ACF5F67
	v_mul_f32_e64 v4, -v104, s6                                // 000000005BFC: D1050004 20000D68
	v_mul_f32_e64 v5, -v105, s6                                // 000000005C04: D1050005 20000D69
	v_mul_f32_e64 v6, -v106, s6                                // 000000005C0C: D1050006 20000D6A
	v_mul_f32_e64 v7, -v107, s6                                // 000000005C14: D1050007 20000D6B
	v_exp_f32_e32 v4, v4                                       // 000000005C1C: 7E084104
	v_exp_f32_e32 v5, v5                                       // 000000005C20: 7E0A4105
	v_exp_f32_e32 v6, v6                                       // 000000005C24: 7E0C4106
	v_exp_f32_e32 v7, v7                                       // 000000005C28: 7E0E4107
	v_add_f32_e64 v4, v4, 1.0                                  // 000000005C2C: D1010004 0001E504
	v_add_f32_e64 v5, v5, 1.0                                  // 000000005C34: D1010005 0001E505
	v_add_f32_e64 v6, v6, 1.0                                  // 000000005C3C: D1010006 0001E506
	v_add_f32_e64 v7, v7, 1.0                                  // 000000005C44: D1010007 0001E507
	v_rcp_f32_e32 v4, v4                                       // 000000005C4C: 7E084504
	v_rcp_f32_e32 v5, v5                                       // 000000005C50: 7E0A4505
	v_rcp_f32_e32 v6, v6                                       // 000000005C54: 7E0C4506
	v_rcp_f32_e32 v7, v7                                       // 000000005C58: 7E0E4507
	v_mul_f32_e32 v104, v104, v4                               // 000000005C5C: 0AD00968
	v_mul_f32_e32 v105, v105, v5                               // 000000005C60: 0AD20B69
	v_mul_f32_e32 v106, v106, v6                               // 000000005C64: 0AD40D6A
	v_mul_f32_e32 v107, v107, v7                               // 000000005C68: 0AD60F6B
	v_mul_f32_e32 v104, v104, v176                             // 000000005C6C: 0AD16168
	v_mul_f32_e32 v105, v105, v177                             // 000000005C70: 0AD36369
	v_mul_f32_e32 v106, v106, v178                             // 000000005C74: 0AD5656A
	v_mul_f32_e32 v107, v107, v179                             // 000000005C78: 0AD7676B
	v_mul_f32_e64 v4, -v108, s6                                // 000000005C7C: D1050004 20000D6C
	v_mul_f32_e64 v5, -v109, s6                                // 000000005C84: D1050005 20000D6D
	v_mul_f32_e64 v6, -v110, s6                                // 000000005C8C: D1050006 20000D6E
	v_mul_f32_e64 v7, -v111, s6                                // 000000005C94: D1050007 20000D6F
	v_exp_f32_e32 v4, v4                                       // 000000005C9C: 7E084104
	v_exp_f32_e32 v5, v5                                       // 000000005CA0: 7E0A4105
	v_exp_f32_e32 v6, v6                                       // 000000005CA4: 7E0C4106
	v_exp_f32_e32 v7, v7                                       // 000000005CA8: 7E0E4107
	v_add_f32_e64 v4, v4, 1.0                                  // 000000005CAC: D1010004 0001E504
	v_add_f32_e64 v5, v5, 1.0                                  // 000000005CB4: D1010005 0001E505
	v_add_f32_e64 v6, v6, 1.0                                  // 000000005CBC: D1010006 0001E506
	v_add_f32_e64 v7, v7, 1.0                                  // 000000005CC4: D1010007 0001E507
	v_rcp_f32_e32 v4, v4                                       // 000000005CCC: 7E084504
	v_rcp_f32_e32 v5, v5                                       // 000000005CD0: 7E0A4505
	v_rcp_f32_e32 v6, v6                                       // 000000005CD4: 7E0C4506
	v_rcp_f32_e32 v7, v7                                       // 000000005CD8: 7E0E4507
	v_mul_f32_e32 v108, v108, v4                               // 000000005CDC: 0AD8096C
	v_mul_f32_e32 v109, v109, v5                               // 000000005CE0: 0ADA0B6D
	v_mul_f32_e32 v110, v110, v6                               // 000000005CE4: 0ADC0D6E
	v_mul_f32_e32 v111, v111, v7                               // 000000005CE8: 0ADE0F6F
	v_mul_f32_e32 v108, v108, v180                             // 000000005CEC: 0AD9696C
	v_mul_f32_e32 v109, v109, v181                             // 000000005CF0: 0ADB6B6D
	v_mul_f32_e32 v110, v110, v182                             // 000000005CF4: 0ADD6D6E
	v_mul_f32_e32 v111, v111, v183                             // 000000005CF8: 0ADF6F6F
	v_mul_f32_e64 v4, -v112, s6                                // 000000005CFC: D1050004 20000D70
	v_mul_f32_e64 v5, -v113, s6                                // 000000005D04: D1050005 20000D71
	v_mul_f32_e64 v6, -v114, s6                                // 000000005D0C: D1050006 20000D72
	v_mul_f32_e64 v7, -v115, s6                                // 000000005D14: D1050007 20000D73
	v_exp_f32_e32 v4, v4                                       // 000000005D1C: 7E084104
	v_exp_f32_e32 v5, v5                                       // 000000005D20: 7E0A4105
	v_exp_f32_e32 v6, v6                                       // 000000005D24: 7E0C4106
	v_exp_f32_e32 v7, v7                                       // 000000005D28: 7E0E4107
	v_add_f32_e64 v4, v4, 1.0                                  // 000000005D2C: D1010004 0001E504
	v_add_f32_e64 v5, v5, 1.0                                  // 000000005D34: D1010005 0001E505
	v_add_f32_e64 v6, v6, 1.0                                  // 000000005D3C: D1010006 0001E506
	v_add_f32_e64 v7, v7, 1.0                                  // 000000005D44: D1010007 0001E507
	v_rcp_f32_e32 v4, v4                                       // 000000005D4C: 7E084504
	v_rcp_f32_e32 v5, v5                                       // 000000005D50: 7E0A4505
	v_rcp_f32_e32 v6, v6                                       // 000000005D54: 7E0C4506
	v_rcp_f32_e32 v7, v7                                       // 000000005D58: 7E0E4507
	v_mul_f32_e32 v112, v112, v4                               // 000000005D5C: 0AE00970
	v_mul_f32_e32 v113, v113, v5                               // 000000005D60: 0AE20B71
	v_mul_f32_e32 v114, v114, v6                               // 000000005D64: 0AE40D72
	v_mul_f32_e32 v115, v115, v7                               // 000000005D68: 0AE60F73
	v_mul_f32_e32 v112, v112, v184                             // 000000005D6C: 0AE17170
	v_mul_f32_e32 v113, v113, v185                             // 000000005D70: 0AE37371
	v_mul_f32_e32 v114, v114, v186                             // 000000005D74: 0AE57572
	v_mul_f32_e32 v115, v115, v187                             // 000000005D78: 0AE77773
	v_mul_f32_e64 v4, -v116, s6                                // 000000005D7C: D1050004 20000D74
	v_mul_f32_e64 v5, -v117, s6                                // 000000005D84: D1050005 20000D75
	v_mul_f32_e64 v6, -v118, s6                                // 000000005D8C: D1050006 20000D76
	v_mul_f32_e64 v7, -v119, s6                                // 000000005D94: D1050007 20000D77
	v_exp_f32_e32 v4, v4                                       // 000000005D9C: 7E084104
	v_exp_f32_e32 v5, v5                                       // 000000005DA0: 7E0A4105
	v_exp_f32_e32 v6, v6                                       // 000000005DA4: 7E0C4106
	v_exp_f32_e32 v7, v7                                       // 000000005DA8: 7E0E4107
	v_add_f32_e64 v4, v4, 1.0                                  // 000000005DAC: D1010004 0001E504
	v_add_f32_e64 v5, v5, 1.0                                  // 000000005DB4: D1010005 0001E505
	v_add_f32_e64 v6, v6, 1.0                                  // 000000005DBC: D1010006 0001E506
	v_add_f32_e64 v7, v7, 1.0                                  // 000000005DC4: D1010007 0001E507
	v_rcp_f32_e32 v4, v4                                       // 000000005DCC: 7E084504
	v_rcp_f32_e32 v5, v5                                       // 000000005DD0: 7E0A4505
	v_rcp_f32_e32 v6, v6                                       // 000000005DD4: 7E0C4506
	v_rcp_f32_e32 v7, v7                                       // 000000005DD8: 7E0E4507
	v_mul_f32_e32 v116, v116, v4                               // 000000005DDC: 0AE80974
	v_mul_f32_e32 v117, v117, v5                               // 000000005DE0: 0AEA0B75
	v_mul_f32_e32 v118, v118, v6                               // 000000005DE4: 0AEC0D76
	v_mul_f32_e32 v119, v119, v7                               // 000000005DE8: 0AEE0F77
	v_mul_f32_e32 v116, v116, v188                             // 000000005DEC: 0AE97974
	v_mul_f32_e32 v117, v117, v189                             // 000000005DF0: 0AEB7B75
	v_mul_f32_e32 v118, v118, v190                             // 000000005DF4: 0AED7D76
	v_mul_f32_e32 v119, v119, v191                             // 000000005DF8: 0AEF7F77
	v_mul_f32_e64 v4, -v120, s6                                // 000000005DFC: D1050004 20000D78
	v_mul_f32_e64 v5, -v121, s6                                // 000000005E04: D1050005 20000D79
	v_mul_f32_e64 v6, -v122, s6                                // 000000005E0C: D1050006 20000D7A
	v_mul_f32_e64 v7, -v123, s6                                // 000000005E14: D1050007 20000D7B
	v_exp_f32_e32 v4, v4                                       // 000000005E1C: 7E084104
	v_exp_f32_e32 v5, v5                                       // 000000005E20: 7E0A4105
	v_exp_f32_e32 v6, v6                                       // 000000005E24: 7E0C4106
	v_exp_f32_e32 v7, v7                                       // 000000005E28: 7E0E4107
	v_add_f32_e64 v4, v4, 1.0                                  // 000000005E2C: D1010004 0001E504
	v_add_f32_e64 v5, v5, 1.0                                  // 000000005E34: D1010005 0001E505
	v_add_f32_e64 v6, v6, 1.0                                  // 000000005E3C: D1010006 0001E506
	v_add_f32_e64 v7, v7, 1.0                                  // 000000005E44: D1010007 0001E507
	v_rcp_f32_e32 v4, v4                                       // 000000005E4C: 7E084504
	v_rcp_f32_e32 v5, v5                                       // 000000005E50: 7E0A4505
	v_rcp_f32_e32 v6, v6                                       // 000000005E54: 7E0C4506
	v_rcp_f32_e32 v7, v7                                       // 000000005E58: 7E0E4507
	v_mul_f32_e32 v120, v120, v4                               // 000000005E5C: 0AF00978
	v_mul_f32_e32 v121, v121, v5                               // 000000005E60: 0AF20B79
	v_mul_f32_e32 v122, v122, v6                               // 000000005E64: 0AF40D7A
	v_mul_f32_e32 v123, v123, v7                               // 000000005E68: 0AF60F7B
	v_mul_f32_e32 v120, v120, v192                             // 000000005E6C: 0AF18178
	v_mul_f32_e32 v121, v121, v193                             // 000000005E70: 0AF38379
	v_mul_f32_e32 v122, v122, v194                             // 000000005E74: 0AF5857A
	v_mul_f32_e32 v123, v123, v195                             // 000000005E78: 0AF7877B
	v_mul_f32_e64 v4, -v124, s6                                // 000000005E7C: D1050004 20000D7C
	v_mul_f32_e64 v5, -v125, s6                                // 000000005E84: D1050005 20000D7D
	v_mul_f32_e64 v6, -v126, s6                                // 000000005E8C: D1050006 20000D7E
	v_mul_f32_e64 v7, -v127, s6                                // 000000005E94: D1050007 20000D7F
	v_exp_f32_e32 v4, v4                                       // 000000005E9C: 7E084104
	v_exp_f32_e32 v5, v5                                       // 000000005EA0: 7E0A4105
	v_exp_f32_e32 v6, v6                                       // 000000005EA4: 7E0C4106
	v_exp_f32_e32 v7, v7                                       // 000000005EA8: 7E0E4107
	v_add_f32_e64 v4, v4, 1.0                                  // 000000005EAC: D1010004 0001E504
	v_add_f32_e64 v5, v5, 1.0                                  // 000000005EB4: D1010005 0001E505
	v_add_f32_e64 v6, v6, 1.0                                  // 000000005EBC: D1010006 0001E506
	v_add_f32_e64 v7, v7, 1.0                                  // 000000005EC4: D1010007 0001E507
	v_rcp_f32_e32 v4, v4                                       // 000000005ECC: 7E084504
	v_rcp_f32_e32 v5, v5                                       // 000000005ED0: 7E0A4505
	v_rcp_f32_e32 v6, v6                                       // 000000005ED4: 7E0C4506
	v_rcp_f32_e32 v7, v7                                       // 000000005ED8: 7E0E4507
	v_mul_f32_e32 v124, v124, v4                               // 000000005EDC: 0AF8097C
	v_mul_f32_e32 v125, v125, v5                               // 000000005EE0: 0AFA0B7D
	v_mul_f32_e32 v126, v126, v6                               // 000000005EE4: 0AFC0D7E
	v_mul_f32_e32 v127, v127, v7                               // 000000005EE8: 0AFE0F7F
	v_mul_f32_e32 v124, v124, v196                             // 000000005EEC: 0AF9897C
	v_mul_f32_e32 v125, v125, v197                             // 000000005EF0: 0AFB8B7D
	v_mul_f32_e32 v126, v126, v198                             // 000000005EF4: 0AFD8D7E
	v_mul_f32_e32 v127, v127, v199                             // 000000005EF8: 0AFF8F7F
	v_mul_f32_e64 v4, -v128, s6                                // 000000005EFC: D1050004 20000D80
	v_mul_f32_e64 v5, -v129, s6                                // 000000005F04: D1050005 20000D81
	v_mul_f32_e64 v6, -v130, s6                                // 000000005F0C: D1050006 20000D82
	v_mul_f32_e64 v7, -v131, s6                                // 000000005F14: D1050007 20000D83
	v_exp_f32_e32 v4, v4                                       // 000000005F1C: 7E084104
	v_exp_f32_e32 v5, v5                                       // 000000005F20: 7E0A4105
	v_exp_f32_e32 v6, v6                                       // 000000005F24: 7E0C4106
	v_exp_f32_e32 v7, v7                                       // 000000005F28: 7E0E4107
	v_add_f32_e64 v4, v4, 1.0                                  // 000000005F2C: D1010004 0001E504
	v_add_f32_e64 v5, v5, 1.0                                  // 000000005F34: D1010005 0001E505
	v_add_f32_e64 v6, v6, 1.0                                  // 000000005F3C: D1010006 0001E506
	v_add_f32_e64 v7, v7, 1.0                                  // 000000005F44: D1010007 0001E507
	v_rcp_f32_e32 v4, v4                                       // 000000005F4C: 7E084504
	v_rcp_f32_e32 v5, v5                                       // 000000005F50: 7E0A4505
	v_rcp_f32_e32 v6, v6                                       // 000000005F54: 7E0C4506
	v_rcp_f32_e32 v7, v7                                       // 000000005F58: 7E0E4507
	v_mul_f32_e32 v128, v128, v4                               // 000000005F5C: 0B000980
	v_mul_f32_e32 v129, v129, v5                               // 000000005F60: 0B020B81
	v_mul_f32_e32 v130, v130, v6                               // 000000005F64: 0B040D82
	v_mul_f32_e32 v131, v131, v7                               // 000000005F68: 0B060F83
	v_mul_f32_e32 v128, v128, v200                             // 000000005F6C: 0B019180
	v_mul_f32_e32 v129, v129, v201                             // 000000005F70: 0B039381
	v_mul_f32_e32 v130, v130, v202                             // 000000005F74: 0B059582
	v_mul_f32_e32 v131, v131, v203                             // 000000005F78: 0B079783
	v_mul_f32_e64 v4, -v132, s6                                // 000000005F7C: D1050004 20000D84
	v_mul_f32_e64 v5, -v133, s6                                // 000000005F84: D1050005 20000D85
	v_mul_f32_e64 v6, -v134, s6                                // 000000005F8C: D1050006 20000D86
	v_mul_f32_e64 v7, -v135, s6                                // 000000005F94: D1050007 20000D87
	v_exp_f32_e32 v4, v4                                       // 000000005F9C: 7E084104
	v_exp_f32_e32 v5, v5                                       // 000000005FA0: 7E0A4105
	v_exp_f32_e32 v6, v6                                       // 000000005FA4: 7E0C4106
	v_exp_f32_e32 v7, v7                                       // 000000005FA8: 7E0E4107
	v_add_f32_e64 v4, v4, 1.0                                  // 000000005FAC: D1010004 0001E504
	v_add_f32_e64 v5, v5, 1.0                                  // 000000005FB4: D1010005 0001E505
	v_add_f32_e64 v6, v6, 1.0                                  // 000000005FBC: D1010006 0001E506
	v_add_f32_e64 v7, v7, 1.0                                  // 000000005FC4: D1010007 0001E507
	v_rcp_f32_e32 v4, v4                                       // 000000005FCC: 7E084504
	v_rcp_f32_e32 v5, v5                                       // 000000005FD0: 7E0A4505
	v_rcp_f32_e32 v6, v6                                       // 000000005FD4: 7E0C4506
	v_rcp_f32_e32 v7, v7                                       // 000000005FD8: 7E0E4507
	v_mul_f32_e32 v132, v132, v4                               // 000000005FDC: 0B080984
	v_mul_f32_e32 v133, v133, v5                               // 000000005FE0: 0B0A0B85
	v_mul_f32_e32 v134, v134, v6                               // 000000005FE4: 0B0C0D86
	v_mul_f32_e32 v135, v135, v7                               // 000000005FE8: 0B0E0F87
	v_mul_f32_e32 v132, v132, v204                             // 000000005FEC: 0B099984
	v_mul_f32_e32 v133, v133, v205                             // 000000005FF0: 0B0B9B85
	v_mul_f32_e32 v134, v134, v206                             // 000000005FF4: 0B0D9D86
	v_mul_f32_e32 v135, v135, v207                             // 000000005FF8: 0B0F9F87
	v_mul_f32_e64 v4, -v136, s6                                // 000000005FFC: D1050004 20000D88
	v_mul_f32_e64 v5, -v137, s6                                // 000000006004: D1050005 20000D89
	v_mul_f32_e64 v6, -v138, s6                                // 00000000600C: D1050006 20000D8A
	v_mul_f32_e64 v7, -v139, s6                                // 000000006014: D1050007 20000D8B
	v_exp_f32_e32 v4, v4                                       // 00000000601C: 7E084104
	v_exp_f32_e32 v5, v5                                       // 000000006020: 7E0A4105
	v_exp_f32_e32 v6, v6                                       // 000000006024: 7E0C4106
	v_exp_f32_e32 v7, v7                                       // 000000006028: 7E0E4107
	v_add_f32_e64 v4, v4, 1.0                                  // 00000000602C: D1010004 0001E504
	v_add_f32_e64 v5, v5, 1.0                                  // 000000006034: D1010005 0001E505
	v_add_f32_e64 v6, v6, 1.0                                  // 00000000603C: D1010006 0001E506
	v_add_f32_e64 v7, v7, 1.0                                  // 000000006044: D1010007 0001E507
	v_rcp_f32_e32 v4, v4                                       // 00000000604C: 7E084504
	v_rcp_f32_e32 v5, v5                                       // 000000006050: 7E0A4505
	v_rcp_f32_e32 v6, v6                                       // 000000006054: 7E0C4506
	v_rcp_f32_e32 v7, v7                                       // 000000006058: 7E0E4507
	v_mul_f32_e32 v136, v136, v4                               // 00000000605C: 0B100988
	v_mul_f32_e32 v137, v137, v5                               // 000000006060: 0B120B89
	v_mul_f32_e32 v138, v138, v6                               // 000000006064: 0B140D8A
	v_mul_f32_e32 v139, v139, v7                               // 000000006068: 0B160F8B
	v_mul_f32_e32 v136, v136, v208                             // 00000000606C: 0B11A188
	v_mul_f32_e32 v137, v137, v209                             // 000000006070: 0B13A389
	v_mul_f32_e32 v138, v138, v210                             // 000000006074: 0B15A58A
	v_mul_f32_e32 v139, v139, v211                             // 000000006078: 0B17A78B
	v_mul_f32_e64 v4, -v140, s6                                // 00000000607C: D1050004 20000D8C
	v_mul_f32_e64 v5, -v141, s6                                // 000000006084: D1050005 20000D8D
	v_mul_f32_e64 v6, -v142, s6                                // 00000000608C: D1050006 20000D8E
	v_mul_f32_e64 v7, -v143, s6                                // 000000006094: D1050007 20000D8F
	v_exp_f32_e32 v4, v4                                       // 00000000609C: 7E084104
	v_exp_f32_e32 v5, v5                                       // 0000000060A0: 7E0A4105
	v_exp_f32_e32 v6, v6                                       // 0000000060A4: 7E0C4106
	v_exp_f32_e32 v7, v7                                       // 0000000060A8: 7E0E4107
	v_add_f32_e64 v4, v4, 1.0                                  // 0000000060AC: D1010004 0001E504
	v_add_f32_e64 v5, v5, 1.0                                  // 0000000060B4: D1010005 0001E505
	v_add_f32_e64 v6, v6, 1.0                                  // 0000000060BC: D1010006 0001E506
	v_add_f32_e64 v7, v7, 1.0                                  // 0000000060C4: D1010007 0001E507
	v_rcp_f32_e32 v4, v4                                       // 0000000060CC: 7E084504
	v_rcp_f32_e32 v5, v5                                       // 0000000060D0: 7E0A4505
	v_rcp_f32_e32 v6, v6                                       // 0000000060D4: 7E0C4506
	v_rcp_f32_e32 v7, v7                                       // 0000000060D8: 7E0E4507
	v_mul_f32_e32 v140, v140, v4                               // 0000000060DC: 0B18098C
	v_mul_f32_e32 v141, v141, v5                               // 0000000060E0: 0B1A0B8D
	v_mul_f32_e32 v142, v142, v6                               // 0000000060E4: 0B1C0D8E
	v_mul_f32_e32 v143, v143, v7                               // 0000000060E8: 0B1E0F8F
	v_mul_f32_e32 v140, v140, v212                             // 0000000060EC: 0B19A98C
	v_mul_f32_e32 v141, v141, v213                             // 0000000060F0: 0B1BAB8D
	v_mul_f32_e32 v142, v142, v214                             // 0000000060F4: 0B1DAD8E
	v_mul_f32_e32 v143, v143, v215                             // 0000000060F8: 0B1FAF8F
	v_mul_f32_e64 v4, -v144, s6                                // 0000000060FC: D1050004 20000D90
	v_mul_f32_e64 v5, -v145, s6                                // 000000006104: D1050005 20000D91
	v_mul_f32_e64 v6, -v146, s6                                // 00000000610C: D1050006 20000D92
	v_mul_f32_e64 v7, -v147, s6                                // 000000006114: D1050007 20000D93
	v_exp_f32_e32 v4, v4                                       // 00000000611C: 7E084104
	v_exp_f32_e32 v5, v5                                       // 000000006120: 7E0A4105
	v_exp_f32_e32 v6, v6                                       // 000000006124: 7E0C4106
	v_exp_f32_e32 v7, v7                                       // 000000006128: 7E0E4107
	v_add_f32_e64 v4, v4, 1.0                                  // 00000000612C: D1010004 0001E504
	v_add_f32_e64 v5, v5, 1.0                                  // 000000006134: D1010005 0001E505
	v_add_f32_e64 v6, v6, 1.0                                  // 00000000613C: D1010006 0001E506
	v_add_f32_e64 v7, v7, 1.0                                  // 000000006144: D1010007 0001E507
	v_rcp_f32_e32 v4, v4                                       // 00000000614C: 7E084504
	v_rcp_f32_e32 v5, v5                                       // 000000006150: 7E0A4505
	v_rcp_f32_e32 v6, v6                                       // 000000006154: 7E0C4506
	v_rcp_f32_e32 v7, v7                                       // 000000006158: 7E0E4507
	v_mul_f32_e32 v144, v144, v4                               // 00000000615C: 0B200990
	v_mul_f32_e32 v145, v145, v5                               // 000000006160: 0B220B91
	v_mul_f32_e32 v146, v146, v6                               // 000000006164: 0B240D92
	v_mul_f32_e32 v147, v147, v7                               // 000000006168: 0B260F93
	v_mul_f32_e32 v144, v144, v216                             // 00000000616C: 0B21B190
	v_mul_f32_e32 v145, v145, v217                             // 000000006170: 0B23B391
	v_mul_f32_e32 v146, v146, v218                             // 000000006174: 0B25B592
	v_mul_f32_e32 v147, v147, v219                             // 000000006178: 0B27B793
	v_mul_f32_e64 v4, -v148, s6                                // 00000000617C: D1050004 20000D94
	v_mul_f32_e64 v5, -v149, s6                                // 000000006184: D1050005 20000D95
	v_mul_f32_e64 v6, -v150, s6                                // 00000000618C: D1050006 20000D96
	v_mul_f32_e64 v7, -v151, s6                                // 000000006194: D1050007 20000D97
	v_exp_f32_e32 v4, v4                                       // 00000000619C: 7E084104
	v_exp_f32_e32 v5, v5                                       // 0000000061A0: 7E0A4105
	v_exp_f32_e32 v6, v6                                       // 0000000061A4: 7E0C4106
	v_exp_f32_e32 v7, v7                                       // 0000000061A8: 7E0E4107
	v_add_f32_e64 v4, v4, 1.0                                  // 0000000061AC: D1010004 0001E504
	v_add_f32_e64 v5, v5, 1.0                                  // 0000000061B4: D1010005 0001E505
	v_add_f32_e64 v6, v6, 1.0                                  // 0000000061BC: D1010006 0001E506
	v_add_f32_e64 v7, v7, 1.0                                  // 0000000061C4: D1010007 0001E507
	v_rcp_f32_e32 v4, v4                                       // 0000000061CC: 7E084504
	v_rcp_f32_e32 v5, v5                                       // 0000000061D0: 7E0A4505
	v_rcp_f32_e32 v6, v6                                       // 0000000061D4: 7E0C4506
	v_rcp_f32_e32 v7, v7                                       // 0000000061D8: 7E0E4507
	v_mul_f32_e32 v148, v148, v4                               // 0000000061DC: 0B280994
	v_mul_f32_e32 v149, v149, v5                               // 0000000061E0: 0B2A0B95
	v_mul_f32_e32 v150, v150, v6                               // 0000000061E4: 0B2C0D96
	v_mul_f32_e32 v151, v151, v7                               // 0000000061E8: 0B2E0F97
	v_mul_f32_e32 v148, v148, v220                             // 0000000061EC: 0B29B994
	v_mul_f32_e32 v149, v149, v221                             // 0000000061F0: 0B2BBB95
	v_mul_f32_e32 v150, v150, v222                             // 0000000061F4: 0B2DBD96
	v_mul_f32_e32 v151, v151, v223                             // 0000000061F8: 0B2FBF97
	v_mul_f32_e64 v4, -v152, s6                                // 0000000061FC: D1050004 20000D98
	v_mul_f32_e64 v5, -v153, s6                                // 000000006204: D1050005 20000D99
	v_mul_f32_e64 v6, -v154, s6                                // 00000000620C: D1050006 20000D9A
	v_mul_f32_e64 v7, -v155, s6                                // 000000006214: D1050007 20000D9B
	v_exp_f32_e32 v4, v4                                       // 00000000621C: 7E084104
	v_exp_f32_e32 v5, v5                                       // 000000006220: 7E0A4105
	v_exp_f32_e32 v6, v6                                       // 000000006224: 7E0C4106
	v_exp_f32_e32 v7, v7                                       // 000000006228: 7E0E4107
	v_add_f32_e64 v4, v4, 1.0                                  // 00000000622C: D1010004 0001E504
	v_add_f32_e64 v5, v5, 1.0                                  // 000000006234: D1010005 0001E505
	v_add_f32_e64 v6, v6, 1.0                                  // 00000000623C: D1010006 0001E506
	v_add_f32_e64 v7, v7, 1.0                                  // 000000006244: D1010007 0001E507
	v_rcp_f32_e32 v4, v4                                       // 00000000624C: 7E084504
	v_rcp_f32_e32 v5, v5                                       // 000000006250: 7E0A4505
	v_rcp_f32_e32 v6, v6                                       // 000000006254: 7E0C4506
	v_rcp_f32_e32 v7, v7                                       // 000000006258: 7E0E4507
	v_mul_f32_e32 v152, v152, v4                               // 00000000625C: 0B300998
	v_mul_f32_e32 v153, v153, v5                               // 000000006260: 0B320B99
	v_mul_f32_e32 v154, v154, v6                               // 000000006264: 0B340D9A
	v_mul_f32_e32 v155, v155, v7                               // 000000006268: 0B360F9B
	v_mul_f32_e32 v152, v152, v224                             // 00000000626C: 0B31C198
	v_mul_f32_e32 v153, v153, v225                             // 000000006270: 0B33C399
	v_mul_f32_e32 v154, v154, v226                             // 000000006274: 0B35C59A
	v_mul_f32_e32 v155, v155, v227                             // 000000006278: 0B37C79B

000000000000627c <label_0E1F>:
	v_cmp_u_f32_e64 s[46:47], v84, v84                         // 00000000627C: D048002E 0002A954
	v_add3_u32 v16, v84, v19, 1                                // 000000006284: D1FF0010 02062754
	v_cndmask_b32_e64 v4, v16, v18, s[46:47]                   // 00000000628C: D1000004 00BA2510
	v_cmp_u_f32_e64 s[46:47], v85, v85                         // 000000006294: D048002E 0002AB55
	v_add3_u32 v16, v85, v19, 1                                // 00000000629C: D1FF0010 02062755
	v_cndmask_b32_e64 v5, v16, v18, s[46:47]                   // 0000000062A4: D1000005 00BA2510
	v_perm_b32 v84, v5, v4, s52                                // 0000000062AC: D1ED0054 00D20905
	v_cmp_u_f32_e64 s[46:47], v86, v86                         // 0000000062B4: D048002E 0002AD56
	v_add3_u32 v16, v86, v19, 1                                // 0000000062BC: D1FF0010 02062756
	v_cndmask_b32_e64 v4, v16, v18, s[46:47]                   // 0000000062C4: D1000004 00BA2510
	v_cmp_u_f32_e64 s[46:47], v87, v87                         // 0000000062CC: D048002E 0002AF57
	v_add3_u32 v16, v87, v19, 1                                // 0000000062D4: D1FF0010 02062757
	v_cndmask_b32_e64 v5, v16, v18, s[46:47]                   // 0000000062DC: D1000005 00BA2510
	v_perm_b32 v85, v5, v4, s52                                // 0000000062E4: D1ED0055 00D20905
	v_cmp_u_f32_e64 s[46:47], v88, v88                         // 0000000062EC: D048002E 0002B158
	v_add3_u32 v16, v88, v19, 1                                // 0000000062F4: D1FF0010 02062758
	v_cndmask_b32_e64 v4, v16, v18, s[46:47]                   // 0000000062FC: D1000004 00BA2510
	v_cmp_u_f32_e64 s[46:47], v89, v89                         // 000000006304: D048002E 0002B359
	v_add3_u32 v16, v89, v19, 1                                // 00000000630C: D1FF0010 02062759
	v_cndmask_b32_e64 v5, v16, v18, s[46:47]                   // 000000006314: D1000005 00BA2510
	v_perm_b32 v86, v5, v4, s52                                // 00000000631C: D1ED0056 00D20905
	v_cmp_u_f32_e64 s[46:47], v90, v90                         // 000000006324: D048002E 0002B55A
	v_add3_u32 v16, v90, v19, 1                                // 00000000632C: D1FF0010 0206275A
	v_cndmask_b32_e64 v4, v16, v18, s[46:47]                   // 000000006334: D1000004 00BA2510
	v_cmp_u_f32_e64 s[46:47], v91, v91                         // 00000000633C: D048002E 0002B75B
	v_add3_u32 v16, v91, v19, 1                                // 000000006344: D1FF0010 0206275B
	v_cndmask_b32_e64 v5, v16, v18, s[46:47]                   // 00000000634C: D1000005 00BA2510
	v_perm_b32 v87, v5, v4, s52                                // 000000006354: D1ED0057 00D20905
	v_cmp_u_f32_e64 s[46:47], v92, v92                         // 00000000635C: D048002E 0002B95C
	v_add3_u32 v16, v92, v19, 1                                // 000000006364: D1FF0010 0206275C
	v_cndmask_b32_e64 v4, v16, v18, s[46:47]                   // 00000000636C: D1000004 00BA2510
	v_cmp_u_f32_e64 s[46:47], v93, v93                         // 000000006374: D048002E 0002BB5D
	v_add3_u32 v16, v93, v19, 1                                // 00000000637C: D1FF0010 0206275D
	v_cndmask_b32_e64 v5, v16, v18, s[46:47]                   // 000000006384: D1000005 00BA2510
	v_perm_b32 v88, v5, v4, s52                                // 00000000638C: D1ED0058 00D20905
	v_cmp_u_f32_e64 s[46:47], v94, v94                         // 000000006394: D048002E 0002BD5E
	v_add3_u32 v16, v94, v19, 1                                // 00000000639C: D1FF0010 0206275E
	v_cndmask_b32_e64 v4, v16, v18, s[46:47]                   // 0000000063A4: D1000004 00BA2510
	v_cmp_u_f32_e64 s[46:47], v95, v95                         // 0000000063AC: D048002E 0002BF5F
	v_add3_u32 v16, v95, v19, 1                                // 0000000063B4: D1FF0010 0206275F
	v_cndmask_b32_e64 v5, v16, v18, s[46:47]                   // 0000000063BC: D1000005 00BA2510
	v_perm_b32 v89, v5, v4, s52                                // 0000000063C4: D1ED0059 00D20905
	v_cmp_u_f32_e64 s[46:47], v96, v96                         // 0000000063CC: D048002E 0002C160
	v_add3_u32 v16, v96, v19, 1                                // 0000000063D4: D1FF0010 02062760
	v_cndmask_b32_e64 v4, v16, v18, s[46:47]                   // 0000000063DC: D1000004 00BA2510
	v_cmp_u_f32_e64 s[46:47], v97, v97                         // 0000000063E4: D048002E 0002C361
	v_add3_u32 v16, v97, v19, 1                                // 0000000063EC: D1FF0010 02062761
	v_cndmask_b32_e64 v5, v16, v18, s[46:47]                   // 0000000063F4: D1000005 00BA2510
	v_perm_b32 v90, v5, v4, s52                                // 0000000063FC: D1ED005A 00D20905
	v_cmp_u_f32_e64 s[46:47], v98, v98                         // 000000006404: D048002E 0002C562
	v_add3_u32 v16, v98, v19, 1                                // 00000000640C: D1FF0010 02062762
	v_cndmask_b32_e64 v4, v16, v18, s[46:47]                   // 000000006414: D1000004 00BA2510
	v_cmp_u_f32_e64 s[46:47], v99, v99                         // 00000000641C: D048002E 0002C763
	v_add3_u32 v16, v99, v19, 1                                // 000000006424: D1FF0010 02062763
	v_cndmask_b32_e64 v5, v16, v18, s[46:47]                   // 00000000642C: D1000005 00BA2510
	v_perm_b32 v91, v5, v4, s52                                // 000000006434: D1ED005B 00D20905
	v_cmp_u_f32_e64 s[46:47], v100, v100                       // 00000000643C: D048002E 0002C964
	v_add3_u32 v16, v100, v19, 1                               // 000000006444: D1FF0010 02062764
	v_cndmask_b32_e64 v4, v16, v18, s[46:47]                   // 00000000644C: D1000004 00BA2510
	v_cmp_u_f32_e64 s[46:47], v101, v101                       // 000000006454: D048002E 0002CB65
	v_add3_u32 v16, v101, v19, 1                               // 00000000645C: D1FF0010 02062765
	v_cndmask_b32_e64 v5, v16, v18, s[46:47]                   // 000000006464: D1000005 00BA2510
	v_perm_b32 v92, v5, v4, s52                                // 00000000646C: D1ED005C 00D20905
	v_cmp_u_f32_e64 s[46:47], v102, v102                       // 000000006474: D048002E 0002CD66
	v_add3_u32 v16, v102, v19, 1                               // 00000000647C: D1FF0010 02062766
	v_cndmask_b32_e64 v4, v16, v18, s[46:47]                   // 000000006484: D1000004 00BA2510
	v_cmp_u_f32_e64 s[46:47], v103, v103                       // 00000000648C: D048002E 0002CF67
	v_add3_u32 v16, v103, v19, 1                               // 000000006494: D1FF0010 02062767
	v_cndmask_b32_e64 v5, v16, v18, s[46:47]                   // 00000000649C: D1000005 00BA2510
	v_perm_b32 v93, v5, v4, s52                                // 0000000064A4: D1ED005D 00D20905
	v_cmp_u_f32_e64 s[46:47], v104, v104                       // 0000000064AC: D048002E 0002D168
	v_add3_u32 v16, v104, v19, 1                               // 0000000064B4: D1FF0010 02062768
	v_cndmask_b32_e64 v4, v16, v18, s[46:47]                   // 0000000064BC: D1000004 00BA2510
	v_cmp_u_f32_e64 s[46:47], v105, v105                       // 0000000064C4: D048002E 0002D369
	v_add3_u32 v16, v105, v19, 1                               // 0000000064CC: D1FF0010 02062769
	v_cndmask_b32_e64 v5, v16, v18, s[46:47]                   // 0000000064D4: D1000005 00BA2510
	v_perm_b32 v94, v5, v4, s52                                // 0000000064DC: D1ED005E 00D20905
	v_cmp_u_f32_e64 s[46:47], v106, v106                       // 0000000064E4: D048002E 0002D56A
	v_add3_u32 v16, v106, v19, 1                               // 0000000064EC: D1FF0010 0206276A
	v_cndmask_b32_e64 v4, v16, v18, s[46:47]                   // 0000000064F4: D1000004 00BA2510
	v_cmp_u_f32_e64 s[46:47], v107, v107                       // 0000000064FC: D048002E 0002D76B
	v_add3_u32 v16, v107, v19, 1                               // 000000006504: D1FF0010 0206276B
	v_cndmask_b32_e64 v5, v16, v18, s[46:47]                   // 00000000650C: D1000005 00BA2510
	v_perm_b32 v95, v5, v4, s52                                // 000000006514: D1ED005F 00D20905
	v_cmp_u_f32_e64 s[46:47], v108, v108                       // 00000000651C: D048002E 0002D96C
	v_add3_u32 v16, v108, v19, 1                               // 000000006524: D1FF0010 0206276C
	v_cndmask_b32_e64 v4, v16, v18, s[46:47]                   // 00000000652C: D1000004 00BA2510
	v_cmp_u_f32_e64 s[46:47], v109, v109                       // 000000006534: D048002E 0002DB6D
	v_add3_u32 v16, v109, v19, 1                               // 00000000653C: D1FF0010 0206276D
	v_cndmask_b32_e64 v5, v16, v18, s[46:47]                   // 000000006544: D1000005 00BA2510
	v_perm_b32 v96, v5, v4, s52                                // 00000000654C: D1ED0060 00D20905
	v_cmp_u_f32_e64 s[46:47], v110, v110                       // 000000006554: D048002E 0002DD6E
	v_add3_u32 v16, v110, v19, 1                               // 00000000655C: D1FF0010 0206276E
	v_cndmask_b32_e64 v4, v16, v18, s[46:47]                   // 000000006564: D1000004 00BA2510
	v_cmp_u_f32_e64 s[46:47], v111, v111                       // 00000000656C: D048002E 0002DF6F
	v_add3_u32 v16, v111, v19, 1                               // 000000006574: D1FF0010 0206276F
	v_cndmask_b32_e64 v5, v16, v18, s[46:47]                   // 00000000657C: D1000005 00BA2510
	v_perm_b32 v97, v5, v4, s52                                // 000000006584: D1ED0061 00D20905
	v_cmp_u_f32_e64 s[46:47], v112, v112                       // 00000000658C: D048002E 0002E170
	v_add3_u32 v16, v112, v19, 1                               // 000000006594: D1FF0010 02062770
	v_cndmask_b32_e64 v4, v16, v18, s[46:47]                   // 00000000659C: D1000004 00BA2510
	v_cmp_u_f32_e64 s[46:47], v113, v113                       // 0000000065A4: D048002E 0002E371
	v_add3_u32 v16, v113, v19, 1                               // 0000000065AC: D1FF0010 02062771
	v_cndmask_b32_e64 v5, v16, v18, s[46:47]                   // 0000000065B4: D1000005 00BA2510
	v_perm_b32 v98, v5, v4, s52                                // 0000000065BC: D1ED0062 00D20905
	v_cmp_u_f32_e64 s[46:47], v114, v114                       // 0000000065C4: D048002E 0002E572
	v_add3_u32 v16, v114, v19, 1                               // 0000000065CC: D1FF0010 02062772
	v_cndmask_b32_e64 v4, v16, v18, s[46:47]                   // 0000000065D4: D1000004 00BA2510
	v_cmp_u_f32_e64 s[46:47], v115, v115                       // 0000000065DC: D048002E 0002E773
	v_add3_u32 v16, v115, v19, 1                               // 0000000065E4: D1FF0010 02062773
	v_cndmask_b32_e64 v5, v16, v18, s[46:47]                   // 0000000065EC: D1000005 00BA2510
	v_perm_b32 v99, v5, v4, s52                                // 0000000065F4: D1ED0063 00D20905
	v_cmp_u_f32_e64 s[46:47], v116, v116                       // 0000000065FC: D048002E 0002E974
	v_add3_u32 v16, v116, v19, 1                               // 000000006604: D1FF0010 02062774
	v_cndmask_b32_e64 v4, v16, v18, s[46:47]                   // 00000000660C: D1000004 00BA2510
	v_cmp_u_f32_e64 s[46:47], v117, v117                       // 000000006614: D048002E 0002EB75
	v_add3_u32 v16, v117, v19, 1                               // 00000000661C: D1FF0010 02062775
	v_cndmask_b32_e64 v5, v16, v18, s[46:47]                   // 000000006624: D1000005 00BA2510
	v_perm_b32 v100, v5, v4, s52                               // 00000000662C: D1ED0064 00D20905
	v_cmp_u_f32_e64 s[46:47], v118, v118                       // 000000006634: D048002E 0002ED76
	v_add3_u32 v16, v118, v19, 1                               // 00000000663C: D1FF0010 02062776
	v_cndmask_b32_e64 v4, v16, v18, s[46:47]                   // 000000006644: D1000004 00BA2510
	v_cmp_u_f32_e64 s[46:47], v119, v119                       // 00000000664C: D048002E 0002EF77
	v_add3_u32 v16, v119, v19, 1                               // 000000006654: D1FF0010 02062777
	v_cndmask_b32_e64 v5, v16, v18, s[46:47]                   // 00000000665C: D1000005 00BA2510
	v_perm_b32 v101, v5, v4, s52                               // 000000006664: D1ED0065 00D20905
	v_cmp_u_f32_e64 s[46:47], v120, v120                       // 00000000666C: D048002E 0002F178
	v_add3_u32 v16, v120, v19, 1                               // 000000006674: D1FF0010 02062778
	v_cndmask_b32_e64 v4, v16, v18, s[46:47]                   // 00000000667C: D1000004 00BA2510
	v_cmp_u_f32_e64 s[46:47], v121, v121                       // 000000006684: D048002E 0002F379
	v_add3_u32 v16, v121, v19, 1                               // 00000000668C: D1FF0010 02062779
	v_cndmask_b32_e64 v5, v16, v18, s[46:47]                   // 000000006694: D1000005 00BA2510
	v_perm_b32 v102, v5, v4, s52                               // 00000000669C: D1ED0066 00D20905
	v_cmp_u_f32_e64 s[46:47], v122, v122                       // 0000000066A4: D048002E 0002F57A
	v_add3_u32 v16, v122, v19, 1                               // 0000000066AC: D1FF0010 0206277A
	v_cndmask_b32_e64 v4, v16, v18, s[46:47]                   // 0000000066B4: D1000004 00BA2510
	v_cmp_u_f32_e64 s[46:47], v123, v123                       // 0000000066BC: D048002E 0002F77B
	v_add3_u32 v16, v123, v19, 1                               // 0000000066C4: D1FF0010 0206277B
	v_cndmask_b32_e64 v5, v16, v18, s[46:47]                   // 0000000066CC: D1000005 00BA2510
	v_perm_b32 v103, v5, v4, s52                               // 0000000066D4: D1ED0067 00D20905
	v_cmp_u_f32_e64 s[46:47], v124, v124                       // 0000000066DC: D048002E 0002F97C
	v_add3_u32 v16, v124, v19, 1                               // 0000000066E4: D1FF0010 0206277C
	v_cndmask_b32_e64 v4, v16, v18, s[46:47]                   // 0000000066EC: D1000004 00BA2510
	v_cmp_u_f32_e64 s[46:47], v125, v125                       // 0000000066F4: D048002E 0002FB7D
	v_add3_u32 v16, v125, v19, 1                               // 0000000066FC: D1FF0010 0206277D
	v_cndmask_b32_e64 v5, v16, v18, s[46:47]                   // 000000006704: D1000005 00BA2510
	v_perm_b32 v104, v5, v4, s52                               // 00000000670C: D1ED0068 00D20905
	v_cmp_u_f32_e64 s[46:47], v126, v126                       // 000000006714: D048002E 0002FD7E
	v_add3_u32 v16, v126, v19, 1                               // 00000000671C: D1FF0010 0206277E
	v_cndmask_b32_e64 v4, v16, v18, s[46:47]                   // 000000006724: D1000004 00BA2510
	v_cmp_u_f32_e64 s[46:47], v127, v127                       // 00000000672C: D048002E 0002FF7F
	v_add3_u32 v16, v127, v19, 1                               // 000000006734: D1FF0010 0206277F
	v_cndmask_b32_e64 v5, v16, v18, s[46:47]                   // 00000000673C: D1000005 00BA2510
	v_perm_b32 v105, v5, v4, s52                               // 000000006744: D1ED0069 00D20905
	v_cmp_u_f32_e64 s[46:47], v128, v128                       // 00000000674C: D048002E 00030180
	v_add3_u32 v16, v128, v19, 1                               // 000000006754: D1FF0010 02062780
	v_cndmask_b32_e64 v4, v16, v18, s[46:47]                   // 00000000675C: D1000004 00BA2510
	v_cmp_u_f32_e64 s[46:47], v129, v129                       // 000000006764: D048002E 00030381
	v_add3_u32 v16, v129, v19, 1                               // 00000000676C: D1FF0010 02062781
	v_cndmask_b32_e64 v5, v16, v18, s[46:47]                   // 000000006774: D1000005 00BA2510
	v_perm_b32 v106, v5, v4, s52                               // 00000000677C: D1ED006A 00D20905
	v_cmp_u_f32_e64 s[46:47], v130, v130                       // 000000006784: D048002E 00030582
	v_add3_u32 v16, v130, v19, 1                               // 00000000678C: D1FF0010 02062782
	v_cndmask_b32_e64 v4, v16, v18, s[46:47]                   // 000000006794: D1000004 00BA2510
	v_cmp_u_f32_e64 s[46:47], v131, v131                       // 00000000679C: D048002E 00030783
	v_add3_u32 v16, v131, v19, 1                               // 0000000067A4: D1FF0010 02062783
	v_cndmask_b32_e64 v5, v16, v18, s[46:47]                   // 0000000067AC: D1000005 00BA2510
	v_perm_b32 v107, v5, v4, s52                               // 0000000067B4: D1ED006B 00D20905
	v_cmp_u_f32_e64 s[46:47], v132, v132                       // 0000000067BC: D048002E 00030984
	v_add3_u32 v16, v132, v19, 1                               // 0000000067C4: D1FF0010 02062784
	v_cndmask_b32_e64 v4, v16, v18, s[46:47]                   // 0000000067CC: D1000004 00BA2510
	v_cmp_u_f32_e64 s[46:47], v133, v133                       // 0000000067D4: D048002E 00030B85
	v_add3_u32 v16, v133, v19, 1                               // 0000000067DC: D1FF0010 02062785
	v_cndmask_b32_e64 v5, v16, v18, s[46:47]                   // 0000000067E4: D1000005 00BA2510
	v_perm_b32 v108, v5, v4, s52                               // 0000000067EC: D1ED006C 00D20905
	v_cmp_u_f32_e64 s[46:47], v134, v134                       // 0000000067F4: D048002E 00030D86
	v_add3_u32 v16, v134, v19, 1                               // 0000000067FC: D1FF0010 02062786
	v_cndmask_b32_e64 v4, v16, v18, s[46:47]                   // 000000006804: D1000004 00BA2510
	v_cmp_u_f32_e64 s[46:47], v135, v135                       // 00000000680C: D048002E 00030F87
	v_add3_u32 v16, v135, v19, 1                               // 000000006814: D1FF0010 02062787
	v_cndmask_b32_e64 v5, v16, v18, s[46:47]                   // 00000000681C: D1000005 00BA2510
	v_perm_b32 v109, v5, v4, s52                               // 000000006824: D1ED006D 00D20905
	v_cmp_u_f32_e64 s[46:47], v136, v136                       // 00000000682C: D048002E 00031188
	v_add3_u32 v16, v136, v19, 1                               // 000000006834: D1FF0010 02062788
	v_cndmask_b32_e64 v4, v16, v18, s[46:47]                   // 00000000683C: D1000004 00BA2510
	v_cmp_u_f32_e64 s[46:47], v137, v137                       // 000000006844: D048002E 00031389
	v_add3_u32 v16, v137, v19, 1                               // 00000000684C: D1FF0010 02062789
	v_cndmask_b32_e64 v5, v16, v18, s[46:47]                   // 000000006854: D1000005 00BA2510
	v_perm_b32 v110, v5, v4, s52                               // 00000000685C: D1ED006E 00D20905
	v_cmp_u_f32_e64 s[46:47], v138, v138                       // 000000006864: D048002E 0003158A
	v_add3_u32 v16, v138, v19, 1                               // 00000000686C: D1FF0010 0206278A
	v_cndmask_b32_e64 v4, v16, v18, s[46:47]                   // 000000006874: D1000004 00BA2510
	v_cmp_u_f32_e64 s[46:47], v139, v139                       // 00000000687C: D048002E 0003178B
	v_add3_u32 v16, v139, v19, 1                               // 000000006884: D1FF0010 0206278B
	v_cndmask_b32_e64 v5, v16, v18, s[46:47]                   // 00000000688C: D1000005 00BA2510
	v_perm_b32 v111, v5, v4, s52                               // 000000006894: D1ED006F 00D20905
	v_cmp_u_f32_e64 s[46:47], v140, v140                       // 00000000689C: D048002E 0003198C
	v_add3_u32 v16, v140, v19, 1                               // 0000000068A4: D1FF0010 0206278C
	v_cndmask_b32_e64 v4, v16, v18, s[46:47]                   // 0000000068AC: D1000004 00BA2510
	v_cmp_u_f32_e64 s[46:47], v141, v141                       // 0000000068B4: D048002E 00031B8D
	v_add3_u32 v16, v141, v19, 1                               // 0000000068BC: D1FF0010 0206278D
	v_cndmask_b32_e64 v5, v16, v18, s[46:47]                   // 0000000068C4: D1000005 00BA2510
	v_perm_b32 v112, v5, v4, s52                               // 0000000068CC: D1ED0070 00D20905
	v_cmp_u_f32_e64 s[46:47], v142, v142                       // 0000000068D4: D048002E 00031D8E
	v_add3_u32 v16, v142, v19, 1                               // 0000000068DC: D1FF0010 0206278E
	v_cndmask_b32_e64 v4, v16, v18, s[46:47]                   // 0000000068E4: D1000004 00BA2510
	v_cmp_u_f32_e64 s[46:47], v143, v143                       // 0000000068EC: D048002E 00031F8F
	v_add3_u32 v16, v143, v19, 1                               // 0000000068F4: D1FF0010 0206278F
	v_cndmask_b32_e64 v5, v16, v18, s[46:47]                   // 0000000068FC: D1000005 00BA2510
	v_perm_b32 v113, v5, v4, s52                               // 000000006904: D1ED0071 00D20905
	v_cmp_u_f32_e64 s[46:47], v144, v144                       // 00000000690C: D048002E 00032190
	v_add3_u32 v16, v144, v19, 1                               // 000000006914: D1FF0010 02062790
	v_cndmask_b32_e64 v4, v16, v18, s[46:47]                   // 00000000691C: D1000004 00BA2510
	v_cmp_u_f32_e64 s[46:47], v145, v145                       // 000000006924: D048002E 00032391
	v_add3_u32 v16, v145, v19, 1                               // 00000000692C: D1FF0010 02062791
	v_cndmask_b32_e64 v5, v16, v18, s[46:47]                   // 000000006934: D1000005 00BA2510
	v_perm_b32 v114, v5, v4, s52                               // 00000000693C: D1ED0072 00D20905
	v_cmp_u_f32_e64 s[46:47], v146, v146                       // 000000006944: D048002E 00032592
	v_add3_u32 v16, v146, v19, 1                               // 00000000694C: D1FF0010 02062792
	v_cndmask_b32_e64 v4, v16, v18, s[46:47]                   // 000000006954: D1000004 00BA2510
	v_cmp_u_f32_e64 s[46:47], v147, v147                       // 00000000695C: D048002E 00032793
	v_add3_u32 v16, v147, v19, 1                               // 000000006964: D1FF0010 02062793
	v_cndmask_b32_e64 v5, v16, v18, s[46:47]                   // 00000000696C: D1000005 00BA2510
	v_perm_b32 v115, v5, v4, s52                               // 000000006974: D1ED0073 00D20905
	v_cmp_u_f32_e64 s[46:47], v148, v148                       // 00000000697C: D048002E 00032994
	v_add3_u32 v16, v148, v19, 1                               // 000000006984: D1FF0010 02062794
	v_cndmask_b32_e64 v4, v16, v18, s[46:47]                   // 00000000698C: D1000004 00BA2510
	v_cmp_u_f32_e64 s[46:47], v149, v149                       // 000000006994: D048002E 00032B95
	v_add3_u32 v16, v149, v19, 1                               // 00000000699C: D1FF0010 02062795
	v_cndmask_b32_e64 v5, v16, v18, s[46:47]                   // 0000000069A4: D1000005 00BA2510
	v_perm_b32 v116, v5, v4, s52                               // 0000000069AC: D1ED0074 00D20905
	v_cmp_u_f32_e64 s[46:47], v150, v150                       // 0000000069B4: D048002E 00032D96
	v_add3_u32 v16, v150, v19, 1                               // 0000000069BC: D1FF0010 02062796
	v_cndmask_b32_e64 v4, v16, v18, s[46:47]                   // 0000000069C4: D1000004 00BA2510
	v_cmp_u_f32_e64 s[46:47], v151, v151                       // 0000000069CC: D048002E 00032F97
	v_add3_u32 v16, v151, v19, 1                               // 0000000069D4: D1FF0010 02062797
	v_cndmask_b32_e64 v5, v16, v18, s[46:47]                   // 0000000069DC: D1000005 00BA2510
	v_perm_b32 v117, v5, v4, s52                               // 0000000069E4: D1ED0075 00D20905
	v_cmp_u_f32_e64 s[46:47], v152, v152                       // 0000000069EC: D048002E 00033198
	v_add3_u32 v16, v152, v19, 1                               // 0000000069F4: D1FF0010 02062798
	v_cndmask_b32_e64 v4, v16, v18, s[46:47]                   // 0000000069FC: D1000004 00BA2510
	v_cmp_u_f32_e64 s[46:47], v153, v153                       // 000000006A04: D048002E 00033399
	v_add3_u32 v16, v153, v19, 1                               // 000000006A0C: D1FF0010 02062799
	v_cndmask_b32_e64 v5, v16, v18, s[46:47]                   // 000000006A14: D1000005 00BA2510
	v_perm_b32 v118, v5, v4, s52                               // 000000006A1C: D1ED0076 00D20905
	v_cmp_u_f32_e64 s[46:47], v154, v154                       // 000000006A24: D048002E 0003359A
	v_add3_u32 v16, v154, v19, 1                               // 000000006A2C: D1FF0010 0206279A
	v_cndmask_b32_e64 v4, v16, v18, s[46:47]                   // 000000006A34: D1000004 00BA2510
	v_cmp_u_f32_e64 s[46:47], v155, v155                       // 000000006A3C: D048002E 0003379B
	v_add3_u32 v16, v155, v19, 1                               // 000000006A44: D1FF0010 0206279B
	v_cndmask_b32_e64 v5, v16, v18, s[46:47]                   // 000000006A4C: D1000005 00BA2510
	v_perm_b32 v119, v5, v4, s52                               // 000000006A54: D1ED0077 00D20905
	ds_write_b64 v20, v[84:85]                                 // 000000006A5C: D89A0000 00005414
	ds_write_b64 v20, v[86:87] offset:4352                     // 000000006A64: D89A1100 00005614
	ds_write_b64 v20, v[88:89] offset:8704                     // 000000006A6C: D89A2200 00005814
	ds_write_b64 v20, v[90:91] offset:13056                    // 000000006A74: D89A3300 00005A14
	ds_write_b64 v20, v[92:93] offset:17408                    // 000000006A7C: D89A4400 00005C14
	ds_write_b64 v20, v[94:95] offset:21760                    // 000000006A84: D89A5500 00005E14
	ds_write_b64 v20, v[96:97] offset:26112                    // 000000006A8C: D89A6600 00006014
	ds_write_b64 v20, v[98:99] offset:30464                    // 000000006A94: D89A7700 00006214
	ds_write_b64 v20, v[100:101] offset:34816                  // 000000006A9C: D89A8800 00006414
	ds_write_b64 v20, v[102:103] offset:2176                   // 000000006AA4: D89A0880 00006614
	ds_write_b64 v20, v[104:105] offset:6528                   // 000000006AAC: D89A1980 00006814
	ds_write_b64 v20, v[106:107] offset:10880                  // 000000006AB4: D89A2A80 00006A14
	ds_write_b64 v20, v[108:109] offset:15232                  // 000000006ABC: D89A3B80 00006C14
	ds_write_b64 v20, v[110:111] offset:19584                  // 000000006AC4: D89A4C80 00006E14
	ds_write_b64 v20, v[112:113] offset:23936                  // 000000006ACC: D89A5D80 00007014
	ds_write_b64 v20, v[114:115] offset:28288                  // 000000006AD4: D89A6E80 00007214
	ds_write_b64 v20, v[116:117] offset:32640                  // 000000006ADC: D89A7F80 00007414
	ds_write_b64 v20, v[118:119] offset:36992                  // 000000006AE4: D89A9080 00007614
	v_lshrrev_b32_e32 v4, 5, v0                                // 000000006AEC: 20080085
	v_xor_b32_e32 v5, 1, v4                                    // 000000006AF0: 2A0A0881
	s_mul_i32 s60, s65, 2                                      // 000000006AF4: 923C8241
	s_cmp_eq_u32 s88, 0                                        // 000000006AF8: BF068058
	s_cselect_b32 s61, 1, 4                                    // 000000006AFC: 853D8481
	s_mul_i32 s60, s61, s60                                    // 000000006B00: 923C3C3D
	v_readlane_b32 s82, v3, 0                                  // 000000006B04: D2890052 00010103
	s_lshr_b32 s61, s82, 24                                    // 000000006B0C: 8F3D9852
	s_and_b32 s82, s82, 0xffffff                               // 000000006B10: 8652FF52 00FFFFFF
	s_mul_i32 s82, s82, s71                                    // 000000006B18: 92524752
	s_mul_i32 s61, s60, s61                                    // 000000006B1C: 923D3D3C
	s_add_u32 s82, s82, s61                                    // 000000006B20: 80523D52
	v_mul_lo_u32 v6, v5, s82                                   // 000000006B24: D2850006 0000A505
	v_readlane_b32 s82, v3, 1                                  // 000000006B2C: D2890052 00010303
	s_lshr_b32 s61, s82, 24                                    // 000000006B34: 8F3D9852
	s_and_b32 s82, s82, 0xffffff                               // 000000006B38: 8652FF52 00FFFFFF
	s_mul_i32 s82, s82, s71                                    // 000000006B40: 92524752
	s_mul_i32 s61, s60, s61                                    // 000000006B44: 923D3D3C
	s_add_u32 s82, s82, s61                                    // 000000006B48: 80523D52
	v_mul_lo_u32 v7, v4, s82                                   // 000000006B4C: D2850007 0000A504
	v_add_u32_e32 v64, v6, v7                                  // 000000006B54: 68800F06
	v_readlane_b32 s82, v3, 2                                  // 000000006B58: D2890052 00010503
	s_lshr_b32 s61, s82, 24                                    // 000000006B60: 8F3D9852
	s_and_b32 s82, s82, 0xffffff                               // 000000006B64: 8652FF52 00FFFFFF
	s_mul_i32 s82, s82, s71                                    // 000000006B6C: 92524752
	s_mul_i32 s61, s60, s61                                    // 000000006B70: 923D3D3C
	s_add_u32 s82, s82, s61                                    // 000000006B74: 80523D52
	v_mul_lo_u32 v6, v5, s82                                   // 000000006B78: D2850006 0000A505
	v_readlane_b32 s82, v3, 3                                  // 000000006B80: D2890052 00010703
	s_lshr_b32 s61, s82, 24                                    // 000000006B88: 8F3D9852
	s_and_b32 s82, s82, 0xffffff                               // 000000006B8C: 8652FF52 00FFFFFF
	s_mul_i32 s82, s82, s71                                    // 000000006B94: 92524752
	s_mul_i32 s61, s60, s61                                    // 000000006B98: 923D3D3C
	s_add_u32 s82, s82, s61                                    // 000000006B9C: 80523D52
	v_mul_lo_u32 v7, v4, s82                                   // 000000006BA0: D2850007 0000A504
	v_add_u32_e32 v65, v6, v7                                  // 000000006BA8: 68820F06
	v_readlane_b32 s82, v3, 4                                  // 000000006BAC: D2890052 00010903
	s_lshr_b32 s61, s82, 24                                    // 000000006BB4: 8F3D9852
	s_and_b32 s82, s82, 0xffffff                               // 000000006BB8: 8652FF52 00FFFFFF
	s_mul_i32 s82, s82, s71                                    // 000000006BC0: 92524752
	s_mul_i32 s61, s60, s61                                    // 000000006BC4: 923D3D3C
	s_add_u32 s82, s82, s61                                    // 000000006BC8: 80523D52
	v_mul_lo_u32 v6, v5, s82                                   // 000000006BCC: D2850006 0000A505
	v_readlane_b32 s82, v3, 5                                  // 000000006BD4: D2890052 00010B03
	s_lshr_b32 s61, s82, 24                                    // 000000006BDC: 8F3D9852
	s_and_b32 s82, s82, 0xffffff                               // 000000006BE0: 8652FF52 00FFFFFF
	s_mul_i32 s82, s82, s71                                    // 000000006BE8: 92524752
	s_mul_i32 s61, s60, s61                                    // 000000006BEC: 923D3D3C
	s_add_u32 s82, s82, s61                                    // 000000006BF0: 80523D52
	v_mul_lo_u32 v7, v4, s82                                   // 000000006BF4: D2850007 0000A504
	v_add_u32_e32 v66, v6, v7                                  // 000000006BFC: 68840F06
	v_readlane_b32 s82, v3, 6                                  // 000000006C00: D2890052 00010D03
	s_lshr_b32 s61, s82, 24                                    // 000000006C08: 8F3D9852
	s_and_b32 s82, s82, 0xffffff                               // 000000006C0C: 8652FF52 00FFFFFF
	s_mul_i32 s82, s82, s71                                    // 000000006C14: 92524752
	s_mul_i32 s61, s60, s61                                    // 000000006C18: 923D3D3C
	s_add_u32 s82, s82, s61                                    // 000000006C1C: 80523D52
	v_mul_lo_u32 v6, v5, s82                                   // 000000006C20: D2850006 0000A505
	v_readlane_b32 s82, v3, 7                                  // 000000006C28: D2890052 00010F03
	s_lshr_b32 s61, s82, 24                                    // 000000006C30: 8F3D9852
	s_and_b32 s82, s82, 0xffffff                               // 000000006C34: 8652FF52 00FFFFFF
	s_mul_i32 s82, s82, s71                                    // 000000006C3C: 92524752
	s_mul_i32 s61, s60, s61                                    // 000000006C40: 923D3D3C
	s_add_u32 s82, s82, s61                                    // 000000006C44: 80523D52
	v_mul_lo_u32 v7, v4, s82                                   // 000000006C48: D2850007 0000A504
	v_add_u32_e32 v67, v6, v7                                  // 000000006C50: 68860F06
	v_readlane_b32 s82, v3, 8                                  // 000000006C54: D2890052 00011103
	s_lshr_b32 s61, s82, 24                                    // 000000006C5C: 8F3D9852
	s_and_b32 s82, s82, 0xffffff                               // 000000006C60: 8652FF52 00FFFFFF
	s_mul_i32 s82, s82, s71                                    // 000000006C68: 92524752
	s_mul_i32 s61, s60, s61                                    // 000000006C6C: 923D3D3C
	s_add_u32 s82, s82, s61                                    // 000000006C70: 80523D52
	v_mul_lo_u32 v6, v5, s82                                   // 000000006C74: D2850006 0000A505
	v_readlane_b32 s82, v3, 9                                  // 000000006C7C: D2890052 00011303
	s_lshr_b32 s61, s82, 24                                    // 000000006C84: 8F3D9852
	s_and_b32 s82, s82, 0xffffff                               // 000000006C88: 8652FF52 00FFFFFF
	s_mul_i32 s82, s82, s71                                    // 000000006C90: 92524752
	s_mul_i32 s61, s60, s61                                    // 000000006C94: 923D3D3C
	s_add_u32 s82, s82, s61                                    // 000000006C98: 80523D52
	v_mul_lo_u32 v7, v4, s82                                   // 000000006C9C: D2850007 0000A504
	v_add_u32_e32 v68, v6, v7                                  // 000000006CA4: 68880F06
	v_readlane_b32 s82, v3, 10                                 // 000000006CA8: D2890052 00011503
	s_lshr_b32 s61, s82, 24                                    // 000000006CB0: 8F3D9852
	s_and_b32 s82, s82, 0xffffff                               // 000000006CB4: 8652FF52 00FFFFFF
	s_mul_i32 s82, s82, s71                                    // 000000006CBC: 92524752
	s_mul_i32 s61, s60, s61                                    // 000000006CC0: 923D3D3C
	s_add_u32 s82, s82, s61                                    // 000000006CC4: 80523D52
	v_mul_lo_u32 v6, v5, s82                                   // 000000006CC8: D2850006 0000A505
	v_readlane_b32 s82, v3, 11                                 // 000000006CD0: D2890052 00011703
	s_lshr_b32 s61, s82, 24                                    // 000000006CD8: 8F3D9852
	s_and_b32 s82, s82, 0xffffff                               // 000000006CDC: 8652FF52 00FFFFFF
	s_mul_i32 s82, s82, s71                                    // 000000006CE4: 92524752
	s_mul_i32 s61, s60, s61                                    // 000000006CE8: 923D3D3C
	s_add_u32 s82, s82, s61                                    // 000000006CEC: 80523D52
	v_mul_lo_u32 v7, v4, s82                                   // 000000006CF0: D2850007 0000A504
	v_add_u32_e32 v69, v6, v7                                  // 000000006CF8: 688A0F06
	v_readlane_b32 s82, v3, 12                                 // 000000006CFC: D2890052 00011903
	s_lshr_b32 s61, s82, 24                                    // 000000006D04: 8F3D9852
	s_and_b32 s82, s82, 0xffffff                               // 000000006D08: 8652FF52 00FFFFFF
	s_mul_i32 s82, s82, s71                                    // 000000006D10: 92524752
	s_mul_i32 s61, s60, s61                                    // 000000006D14: 923D3D3C
	s_add_u32 s82, s82, s61                                    // 000000006D18: 80523D52
	v_mul_lo_u32 v6, v5, s82                                   // 000000006D1C: D2850006 0000A505
	v_readlane_b32 s82, v3, 13                                 // 000000006D24: D2890052 00011B03
	s_lshr_b32 s61, s82, 24                                    // 000000006D2C: 8F3D9852
	s_and_b32 s82, s82, 0xffffff                               // 000000006D30: 8652FF52 00FFFFFF
	s_mul_i32 s82, s82, s71                                    // 000000006D38: 92524752
	s_mul_i32 s61, s60, s61                                    // 000000006D3C: 923D3D3C
	s_add_u32 s82, s82, s61                                    // 000000006D40: 80523D52
	v_mul_lo_u32 v7, v4, s82                                   // 000000006D44: D2850007 0000A504
	v_add_u32_e32 v70, v6, v7                                  // 000000006D4C: 688C0F06
	v_readlane_b32 s82, v3, 14                                 // 000000006D50: D2890052 00011D03
	s_lshr_b32 s61, s82, 24                                    // 000000006D58: 8F3D9852
	s_and_b32 s82, s82, 0xffffff                               // 000000006D5C: 8652FF52 00FFFFFF
	s_mul_i32 s82, s82, s71                                    // 000000006D64: 92524752
	s_mul_i32 s61, s60, s61                                    // 000000006D68: 923D3D3C
	s_add_u32 s82, s82, s61                                    // 000000006D6C: 80523D52
	v_mul_lo_u32 v6, v5, s82                                   // 000000006D70: D2850006 0000A505
	v_readlane_b32 s82, v3, 15                                 // 000000006D78: D2890052 00011F03
	s_lshr_b32 s61, s82, 24                                    // 000000006D80: 8F3D9852
	s_and_b32 s82, s82, 0xffffff                               // 000000006D84: 8652FF52 00FFFFFF
	s_mul_i32 s82, s82, s71                                    // 000000006D8C: 92524752
	s_mul_i32 s61, s60, s61                                    // 000000006D90: 923D3D3C
	s_add_u32 s82, s82, s61                                    // 000000006D94: 80523D52
	v_mul_lo_u32 v7, v4, s82                                   // 000000006D98: D2850007 0000A504
	v_add_u32_e32 v71, v6, v7                                  // 000000006DA0: 688E0F06
	v_readlane_b32 s82, v3, 16                                 // 000000006DA4: D2890052 00012103
	s_lshr_b32 s61, s82, 24                                    // 000000006DAC: 8F3D9852
	s_and_b32 s82, s82, 0xffffff                               // 000000006DB0: 8652FF52 00FFFFFF
	s_mul_i32 s82, s82, s71                                    // 000000006DB8: 92524752
	s_mul_i32 s61, s60, s61                                    // 000000006DBC: 923D3D3C
	s_add_u32 s82, s82, s61                                    // 000000006DC0: 80523D52
	v_mul_lo_u32 v6, v5, s82                                   // 000000006DC4: D2850006 0000A505
	v_readlane_b32 s82, v3, 17                                 // 000000006DCC: D2890052 00012303
	s_lshr_b32 s61, s82, 24                                    // 000000006DD4: 8F3D9852
	s_and_b32 s82, s82, 0xffffff                               // 000000006DD8: 8652FF52 00FFFFFF
	s_mul_i32 s82, s82, s71                                    // 000000006DE0: 92524752
	s_mul_i32 s61, s60, s61                                    // 000000006DE4: 923D3D3C
	s_add_u32 s82, s82, s61                                    // 000000006DE8: 80523D52
	v_mul_lo_u32 v7, v4, s82                                   // 000000006DEC: D2850007 0000A504
	v_add_u32_e32 v72, v6, v7                                  // 000000006DF4: 68900F06
	v_readlane_b32 s82, v3, 18                                 // 000000006DF8: D2890052 00012503
	s_lshr_b32 s61, s82, 24                                    // 000000006E00: 8F3D9852
	s_and_b32 s82, s82, 0xffffff                               // 000000006E04: 8652FF52 00FFFFFF
	s_mul_i32 s82, s82, s71                                    // 000000006E0C: 92524752
	s_mul_i32 s61, s60, s61                                    // 000000006E10: 923D3D3C
	s_add_u32 s82, s82, s61                                    // 000000006E14: 80523D52
	v_mul_lo_u32 v6, v5, s82                                   // 000000006E18: D2850006 0000A505
	v_readlane_b32 s82, v3, 19                                 // 000000006E20: D2890052 00012703
	s_lshr_b32 s61, s82, 24                                    // 000000006E28: 8F3D9852
	s_and_b32 s82, s82, 0xffffff                               // 000000006E2C: 8652FF52 00FFFFFF
	s_mul_i32 s82, s82, s71                                    // 000000006E34: 92524752
	s_mul_i32 s61, s60, s61                                    // 000000006E38: 923D3D3C
	s_add_u32 s82, s82, s61                                    // 000000006E3C: 80523D52
	v_mul_lo_u32 v7, v4, s82                                   // 000000006E40: D2850007 0000A504
	v_add_u32_e32 v73, v6, v7                                  // 000000006E48: 68920F06
	v_readlane_b32 s82, v3, 20                                 // 000000006E4C: D2890052 00012903
	s_lshr_b32 s61, s82, 24                                    // 000000006E54: 8F3D9852
	s_and_b32 s82, s82, 0xffffff                               // 000000006E58: 8652FF52 00FFFFFF
	s_mul_i32 s82, s82, s71                                    // 000000006E60: 92524752
	s_mul_i32 s61, s60, s61                                    // 000000006E64: 923D3D3C
	s_add_u32 s82, s82, s61                                    // 000000006E68: 80523D52
	v_mul_lo_u32 v6, v5, s82                                   // 000000006E6C: D2850006 0000A505
	v_readlane_b32 s82, v3, 21                                 // 000000006E74: D2890052 00012B03
	s_lshr_b32 s61, s82, 24                                    // 000000006E7C: 8F3D9852
	s_and_b32 s82, s82, 0xffffff                               // 000000006E80: 8652FF52 00FFFFFF
	s_mul_i32 s82, s82, s71                                    // 000000006E88: 92524752
	s_mul_i32 s61, s60, s61                                    // 000000006E8C: 923D3D3C
	s_add_u32 s82, s82, s61                                    // 000000006E90: 80523D52
	v_mul_lo_u32 v7, v4, s82                                   // 000000006E94: D2850007 0000A504
	v_add_u32_e32 v74, v6, v7                                  // 000000006E9C: 68940F06
	v_readlane_b32 s82, v3, 22                                 // 000000006EA0: D2890052 00012D03
	s_lshr_b32 s61, s82, 24                                    // 000000006EA8: 8F3D9852
	s_and_b32 s82, s82, 0xffffff                               // 000000006EAC: 8652FF52 00FFFFFF
	s_mul_i32 s82, s82, s71                                    // 000000006EB4: 92524752
	s_mul_i32 s61, s60, s61                                    // 000000006EB8: 923D3D3C
	s_add_u32 s82, s82, s61                                    // 000000006EBC: 80523D52
	v_mul_lo_u32 v6, v5, s82                                   // 000000006EC0: D2850006 0000A505
	v_readlane_b32 s82, v3, 23                                 // 000000006EC8: D2890052 00012F03
	s_lshr_b32 s61, s82, 24                                    // 000000006ED0: 8F3D9852
	s_and_b32 s82, s82, 0xffffff                               // 000000006ED4: 8652FF52 00FFFFFF
	s_mul_i32 s82, s82, s71                                    // 000000006EDC: 92524752
	s_mul_i32 s61, s60, s61                                    // 000000006EE0: 923D3D3C
	s_add_u32 s82, s82, s61                                    // 000000006EE4: 80523D52
	v_mul_lo_u32 v7, v4, s82                                   // 000000006EE8: D2850007 0000A504
	v_add_u32_e32 v75, v6, v7                                  // 000000006EF0: 68960F06
	v_readlane_b32 s82, v3, 24                                 // 000000006EF4: D2890052 00013103
	s_lshr_b32 s61, s82, 24                                    // 000000006EFC: 8F3D9852
	s_and_b32 s82, s82, 0xffffff                               // 000000006F00: 8652FF52 00FFFFFF
	s_mul_i32 s82, s82, s71                                    // 000000006F08: 92524752
	s_mul_i32 s61, s60, s61                                    // 000000006F0C: 923D3D3C
	s_add_u32 s82, s82, s61                                    // 000000006F10: 80523D52
	v_mul_lo_u32 v6, v5, s82                                   // 000000006F14: D2850006 0000A505
	v_readlane_b32 s82, v3, 25                                 // 000000006F1C: D2890052 00013303
	s_lshr_b32 s61, s82, 24                                    // 000000006F24: 8F3D9852
	s_and_b32 s82, s82, 0xffffff                               // 000000006F28: 8652FF52 00FFFFFF
	s_mul_i32 s82, s82, s71                                    // 000000006F30: 92524752
	s_mul_i32 s61, s60, s61                                    // 000000006F34: 923D3D3C
	s_add_u32 s82, s82, s61                                    // 000000006F38: 80523D52
	v_mul_lo_u32 v7, v4, s82                                   // 000000006F3C: D2850007 0000A504
	v_add_u32_e32 v76, v6, v7                                  // 000000006F44: 68980F06
	v_readlane_b32 s82, v3, 26                                 // 000000006F48: D2890052 00013503
	s_lshr_b32 s61, s82, 24                                    // 000000006F50: 8F3D9852
	s_and_b32 s82, s82, 0xffffff                               // 000000006F54: 8652FF52 00FFFFFF
	s_mul_i32 s82, s82, s71                                    // 000000006F5C: 92524752
	s_mul_i32 s61, s60, s61                                    // 000000006F60: 923D3D3C
	s_add_u32 s82, s82, s61                                    // 000000006F64: 80523D52
	v_mul_lo_u32 v6, v5, s82                                   // 000000006F68: D2850006 0000A505
	v_readlane_b32 s82, v3, 27                                 // 000000006F70: D2890052 00013703
	s_lshr_b32 s61, s82, 24                                    // 000000006F78: 8F3D9852
	s_and_b32 s82, s82, 0xffffff                               // 000000006F7C: 8652FF52 00FFFFFF
	s_mul_i32 s82, s82, s71                                    // 000000006F84: 92524752
	s_mul_i32 s61, s60, s61                                    // 000000006F88: 923D3D3C
	s_add_u32 s82, s82, s61                                    // 000000006F8C: 80523D52
	v_mul_lo_u32 v7, v4, s82                                   // 000000006F90: D2850007 0000A504
	v_add_u32_e32 v77, v6, v7                                  // 000000006F98: 689A0F06
	v_readlane_b32 s82, v3, 28                                 // 000000006F9C: D2890052 00013903
	s_lshr_b32 s61, s82, 24                                    // 000000006FA4: 8F3D9852
	s_and_b32 s82, s82, 0xffffff                               // 000000006FA8: 8652FF52 00FFFFFF
	s_mul_i32 s82, s82, s71                                    // 000000006FB0: 92524752
	s_mul_i32 s61, s60, s61                                    // 000000006FB4: 923D3D3C
	s_add_u32 s82, s82, s61                                    // 000000006FB8: 80523D52
	v_mul_lo_u32 v6, v5, s82                                   // 000000006FBC: D2850006 0000A505
	v_readlane_b32 s82, v3, 29                                 // 000000006FC4: D2890052 00013B03
	s_lshr_b32 s61, s82, 24                                    // 000000006FCC: 8F3D9852
	s_and_b32 s82, s82, 0xffffff                               // 000000006FD0: 8652FF52 00FFFFFF
	s_mul_i32 s82, s82, s71                                    // 000000006FD8: 92524752
	s_mul_i32 s61, s60, s61                                    // 000000006FDC: 923D3D3C
	s_add_u32 s82, s82, s61                                    // 000000006FE0: 80523D52
	v_mul_lo_u32 v7, v4, s82                                   // 000000006FE4: D2850007 0000A504
	v_add_u32_e32 v78, v6, v7                                  // 000000006FEC: 689C0F06
	v_readlane_b32 s82, v3, 30                                 // 000000006FF0: D2890052 00013D03
	s_lshr_b32 s61, s82, 24                                    // 000000006FF8: 8F3D9852
	s_and_b32 s82, s82, 0xffffff                               // 000000006FFC: 8652FF52 00FFFFFF
	s_mul_i32 s82, s82, s71                                    // 000000007004: 92524752
	s_mul_i32 s61, s60, s61                                    // 000000007008: 923D3D3C
	s_add_u32 s82, s82, s61                                    // 00000000700C: 80523D52
	v_mul_lo_u32 v6, v5, s82                                   // 000000007010: D2850006 0000A505
	v_readlane_b32 s82, v3, 31                                 // 000000007018: D2890052 00013F03
	s_lshr_b32 s61, s82, 24                                    // 000000007020: 8F3D9852
	s_and_b32 s82, s82, 0xffffff                               // 000000007024: 8652FF52 00FFFFFF
	s_mul_i32 s82, s82, s71                                    // 00000000702C: 92524752
	s_mul_i32 s61, s60, s61                                    // 000000007030: 923D3D3C
	s_add_u32 s82, s82, s61                                    // 000000007034: 80523D52
	v_mul_lo_u32 v7, v4, s82                                   // 000000007038: D2850007 0000A504
	v_add_u32_e32 v79, v6, v7                                  // 000000007040: 689E0F06
	v_readlane_b32 s82, v3, 32                                 // 000000007044: D2890052 00014103
	s_lshr_b32 s61, s82, 24                                    // 00000000704C: 8F3D9852
	s_and_b32 s82, s82, 0xffffff                               // 000000007050: 8652FF52 00FFFFFF
	s_mul_i32 s82, s82, s71                                    // 000000007058: 92524752
	s_mul_i32 s61, s60, s61                                    // 00000000705C: 923D3D3C
	s_add_u32 s82, s82, s61                                    // 000000007060: 80523D52
	v_mul_lo_u32 v6, v5, s82                                   // 000000007064: D2850006 0000A505
	v_readlane_b32 s82, v3, 33                                 // 00000000706C: D2890052 00014303
	s_lshr_b32 s61, s82, 24                                    // 000000007074: 8F3D9852
	s_and_b32 s82, s82, 0xffffff                               // 000000007078: 8652FF52 00FFFFFF
	s_mul_i32 s82, s82, s71                                    // 000000007080: 92524752
	s_mul_i32 s61, s60, s61                                    // 000000007084: 923D3D3C
	s_add_u32 s82, s82, s61                                    // 000000007088: 80523D52
	v_mul_lo_u32 v7, v4, s82                                   // 00000000708C: D2850007 0000A504
	v_add_u32_e32 v80, v6, v7                                  // 000000007094: 68A00F06
	v_readlane_b32 s82, v3, 34                                 // 000000007098: D2890052 00014503
	s_lshr_b32 s61, s82, 24                                    // 0000000070A0: 8F3D9852
	s_and_b32 s82, s82, 0xffffff                               // 0000000070A4: 8652FF52 00FFFFFF
	s_mul_i32 s82, s82, s71                                    // 0000000070AC: 92524752
	s_mul_i32 s61, s60, s61                                    // 0000000070B0: 923D3D3C
	s_add_u32 s82, s82, s61                                    // 0000000070B4: 80523D52
	v_mul_lo_u32 v6, v5, s82                                   // 0000000070B8: D2850006 0000A505
	v_readlane_b32 s82, v3, 35                                 // 0000000070C0: D2890052 00014703
	s_lshr_b32 s61, s82, 24                                    // 0000000070C8: 8F3D9852
	s_and_b32 s82, s82, 0xffffff                               // 0000000070CC: 8652FF52 00FFFFFF
	s_mul_i32 s82, s82, s71                                    // 0000000070D4: 92524752
	s_mul_i32 s61, s60, s61                                    // 0000000070D8: 923D3D3C
	s_add_u32 s82, s82, s61                                    // 0000000070DC: 80523D52
	v_mul_lo_u32 v7, v4, s82                                   // 0000000070E0: D2850007 0000A504
	v_add_u32_e32 v81, v6, v7                                  // 0000000070E8: 68A20F06
	v_and_b32_e32 v4, 31, v0                                   // 0000000070EC: 2608009F
	v_lshrrev_b32_e32 v4, 1, v4                                // 0000000070F0: 20080881
	s_cmp_eq_u32 s88, 0                                        // 0000000070F4: BF068058
	s_cselect_b32 s61, 2, 4                                    // 0000000070F8: 853D8482
	v_mul_lo_u32 v4, v4, s61                                   // 0000000070FC: D2850004 00007B04
	v_and_b32_e64 v5, v0, 1                                    // 000000007104: D1130005 00010300
	v_add_u32_e32 v4, v4, v5                                   // 00000000710C: 68080B04
	v_lshlrev_b32_e32 v4, 2, v4                                // 000000007110: 24080882
	v_add_u32_e32 v64, v64, v4                                 // 000000007114: 68800940
	v_add_u32_e32 v65, v65, v4                                 // 000000007118: 68820941
	v_add_u32_e32 v66, v66, v4                                 // 00000000711C: 68840942
	v_add_u32_e32 v67, v67, v4                                 // 000000007120: 68860943
	v_add_u32_e32 v68, v68, v4                                 // 000000007124: 68880944
	v_add_u32_e32 v69, v69, v4                                 // 000000007128: 688A0945
	v_add_u32_e32 v70, v70, v4                                 // 00000000712C: 688C0946
	v_add_u32_e32 v71, v71, v4                                 // 000000007130: 688E0947
	v_add_u32_e32 v72, v72, v4                                 // 000000007134: 68900948
	v_add_u32_e32 v73, v73, v4                                 // 000000007138: 68920949
	v_add_u32_e32 v74, v74, v4                                 // 00000000713C: 6894094A
	v_add_u32_e32 v75, v75, v4                                 // 000000007140: 6896094B
	v_add_u32_e32 v76, v76, v4                                 // 000000007144: 6898094C
	v_add_u32_e32 v77, v77, v4                                 // 000000007148: 689A094D
	v_add_u32_e32 v78, v78, v4                                 // 00000000714C: 689C094E
	v_add_u32_e32 v79, v79, v4                                 // 000000007150: 689E094F
	v_add_u32_e32 v80, v80, v4                                 // 000000007154: 68A00950
	v_add_u32_e32 v81, v81, v4                                 // 000000007158: 68A20951
	s_waitcnt lgkmcnt(0)                                       // 00000000715C: BF8CC07F
	s_barrier                                                  // 000000007160: BF8A0000
	ds_read_b32 v84, v21                                       // 000000007164: D86C0000 54000015
	ds_read_b32 v85, v21 offset:64                             // 00000000716C: D86C0040 55000015
	ds_read_b32 v86, v21 offset:2176                           // 000000007174: D86C0880 56000015
	ds_read_b32 v87, v21 offset:2240                           // 00000000717C: D86C08C0 57000015
	ds_read_b32 v88, v21 offset:4352                           // 000000007184: D86C1100 58000015
	ds_read_b32 v89, v21 offset:4416                           // 00000000718C: D86C1140 59000015
	ds_read_b32 v90, v21 offset:6528                           // 000000007194: D86C1980 5A000015
	ds_read_b32 v91, v21 offset:6592                           // 00000000719C: D86C19C0 5B000015
	ds_read_b32 v92, v21 offset:8704                           // 0000000071A4: D86C2200 5C000015
	ds_read_b32 v93, v21 offset:8768                           // 0000000071AC: D86C2240 5D000015
	ds_read_b32 v94, v21 offset:10880                          // 0000000071B4: D86C2A80 5E000015
	ds_read_b32 v95, v21 offset:10944                          // 0000000071BC: D86C2AC0 5F000015
	ds_read_b32 v96, v21 offset:13056                          // 0000000071C4: D86C3300 60000015
	ds_read_b32 v97, v21 offset:13120                          // 0000000071CC: D86C3340 61000015
	ds_read_b32 v98, v21 offset:15232                          // 0000000071D4: D86C3B80 62000015
	ds_read_b32 v99, v21 offset:15296                          // 0000000071DC: D86C3BC0 63000015
	ds_read_b32 v100, v21 offset:17408                         // 0000000071E4: D86C4400 64000015
	ds_read_b32 v101, v21 offset:17472                         // 0000000071EC: D86C4440 65000015
	ds_read_b32 v102, v21 offset:19584                         // 0000000071F4: D86C4C80 66000015
	ds_read_b32 v103, v21 offset:19648                         // 0000000071FC: D86C4CC0 67000015
	ds_read_b32 v104, v21 offset:21760                         // 000000007204: D86C5500 68000015
	ds_read_b32 v105, v21 offset:21824                         // 00000000720C: D86C5540 69000015
	ds_read_b32 v106, v21 offset:23936                         // 000000007214: D86C5D80 6A000015
	ds_read_b32 v107, v21 offset:24000                         // 00000000721C: D86C5DC0 6B000015
	ds_read_b32 v108, v21 offset:26112                         // 000000007224: D86C6600 6C000015
	ds_read_b32 v109, v21 offset:26176                         // 00000000722C: D86C6640 6D000015
	ds_read_b32 v110, v21 offset:28288                         // 000000007234: D86C6E80 6E000015
	ds_read_b32 v111, v21 offset:28352                         // 00000000723C: D86C6EC0 6F000015
	ds_read_b32 v112, v21 offset:30464                         // 000000007244: D86C7700 70000015
	ds_read_b32 v113, v21 offset:30528                         // 00000000724C: D86C7740 71000015
	ds_read_b32 v114, v21 offset:32640                         // 000000007254: D86C7F80 72000015
	ds_read_b32 v115, v21 offset:32704                         // 00000000725C: D86C7FC0 73000015
	ds_read_b32 v116, v21 offset:34816                         // 000000007264: D86C8800 74000015
	ds_read_b32 v117, v21 offset:34880                         // 00000000726C: D86C8840 75000015
	ds_read_b32 v118, v21 offset:36992                         // 000000007274: D86C9080 76000015
	ds_read_b32 v119, v21 offset:37056                         // 00000000727C: D86C90C0 77000015
	s_waitcnt lgkmcnt(0)                                       // 000000007284: BF8CC07F
	s_mov_b32 s36, -1                                          // 000000007288: BEA400C1
	s_mov_b32 s37, -1                                          // 00000000728C: BEA500C1
	v_mov_b32_e32 v7, 0                                        // 000000007290: 7E0E0280
	s_or_b32 s9, s9, 0x40000                                   // 000000007294: 8709FF09 00040000
	s_mov_b64 exec, s[36:37]                                   // 00000000729C: BEFE0124
	v_mov_b32_e32 v6, v64                                      // 0000000072A0: 7E0C0340
	s_mov_b64 s[60:61], 0                                      // 0000000072A4: BEBC0180
	v_readlane_b32 s82, v3, 0                                  // 0000000072A8: D2890052 00010103
	s_and_b32 s82, s82, 0xffffff                               // 0000000072B0: 8652FF52 00FFFFFF
	s_cmp_lt_u32 s82, s66                                      // 0000000072B8: BF0A4252
	s_cselect_b32 s20, s36, s60                                // 0000000072BC: 85143C24
	v_readlane_b32 s82, v3, 1                                  // 0000000072C0: D2890052 00010303
	s_and_b32 s82, s82, 0xffffff                               // 0000000072C8: 8652FF52 00FFFFFF
	s_cmp_lt_u32 s82, s66                                      // 0000000072D0: BF0A4252
	s_cselect_b32 s21, s36, s60                                // 0000000072D4: 85153C24
	s_mov_b64 exec, s[20:21]                                   // 0000000072D8: BEFE0114
	buffer_store_dword v84, v6, s[8:11], 0 offen               // 0000000072DC: E0701000 80025406
	buffer_store_dword v86, v6, s[8:11], 0 offen offset:128    // 0000000072E4: E0701080 80025606
	s_mov_b64 exec, s[36:37]                                   // 0000000072EC: BEFE0124
	v_mov_b32_e32 v6, v65                                      // 0000000072F0: 7E0C0341
	s_mov_b64 s[60:61], 0                                      // 0000000072F4: BEBC0180
	v_readlane_b32 s82, v3, 2                                  // 0000000072F8: D2890052 00010503
	s_and_b32 s82, s82, 0xffffff                               // 000000007300: 8652FF52 00FFFFFF
	s_cmp_lt_u32 s82, s66                                      // 000000007308: BF0A4252
	s_cselect_b32 s20, s36, s60                                // 00000000730C: 85143C24
	v_readlane_b32 s82, v3, 3                                  // 000000007310: D2890052 00010703
	s_and_b32 s82, s82, 0xffffff                               // 000000007318: 8652FF52 00FFFFFF
	s_cmp_lt_u32 s82, s66                                      // 000000007320: BF0A4252
	s_cselect_b32 s21, s36, s60                                // 000000007324: 85153C24
	s_mov_b64 exec, s[20:21]                                   // 000000007328: BEFE0114
	buffer_store_dword v85, v6, s[8:11], 0 offen               // 00000000732C: E0701000 80025506
	buffer_store_dword v87, v6, s[8:11], 0 offen offset:128    // 000000007334: E0701080 80025706
	s_mov_b64 exec, s[36:37]                                   // 00000000733C: BEFE0124
	v_mov_b32_e32 v6, v66                                      // 000000007340: 7E0C0342
	s_mov_b64 s[60:61], 0                                      // 000000007344: BEBC0180
	v_readlane_b32 s82, v3, 4                                  // 000000007348: D2890052 00010903
	s_and_b32 s82, s82, 0xffffff                               // 000000007350: 8652FF52 00FFFFFF
	s_cmp_lt_u32 s82, s66                                      // 000000007358: BF0A4252
	s_cselect_b32 s20, s36, s60                                // 00000000735C: 85143C24
	v_readlane_b32 s82, v3, 5                                  // 000000007360: D2890052 00010B03
	s_and_b32 s82, s82, 0xffffff                               // 000000007368: 8652FF52 00FFFFFF
	s_cmp_lt_u32 s82, s66                                      // 000000007370: BF0A4252
	s_cselect_b32 s21, s36, s60                                // 000000007374: 85153C24
	s_mov_b64 exec, s[20:21]                                   // 000000007378: BEFE0114
	buffer_store_dword v88, v6, s[8:11], 0 offen               // 00000000737C: E0701000 80025806
	buffer_store_dword v90, v6, s[8:11], 0 offen offset:128    // 000000007384: E0701080 80025A06
	s_mov_b64 exec, s[36:37]                                   // 00000000738C: BEFE0124
	v_mov_b32_e32 v6, v67                                      // 000000007390: 7E0C0343
	s_mov_b64 s[60:61], 0                                      // 000000007394: BEBC0180
	v_readlane_b32 s82, v3, 6                                  // 000000007398: D2890052 00010D03
	s_and_b32 s82, s82, 0xffffff                               // 0000000073A0: 8652FF52 00FFFFFF
	s_cmp_lt_u32 s82, s66                                      // 0000000073A8: BF0A4252
	s_cselect_b32 s20, s36, s60                                // 0000000073AC: 85143C24
	v_readlane_b32 s82, v3, 7                                  // 0000000073B0: D2890052 00010F03
	s_and_b32 s82, s82, 0xffffff                               // 0000000073B8: 8652FF52 00FFFFFF
	s_cmp_lt_u32 s82, s66                                      // 0000000073C0: BF0A4252
	s_cselect_b32 s21, s36, s60                                // 0000000073C4: 85153C24
	s_mov_b64 exec, s[20:21]                                   // 0000000073C8: BEFE0114
	buffer_store_dword v89, v6, s[8:11], 0 offen               // 0000000073CC: E0701000 80025906
	buffer_store_dword v91, v6, s[8:11], 0 offen offset:128    // 0000000073D4: E0701080 80025B06
	s_mov_b64 exec, s[36:37]                                   // 0000000073DC: BEFE0124
	v_mov_b32_e32 v6, v68                                      // 0000000073E0: 7E0C0344
	s_mov_b64 s[60:61], 0                                      // 0000000073E4: BEBC0180
	v_readlane_b32 s82, v3, 8                                  // 0000000073E8: D2890052 00011103
	s_and_b32 s82, s82, 0xffffff                               // 0000000073F0: 8652FF52 00FFFFFF
	s_cmp_lt_u32 s82, s66                                      // 0000000073F8: BF0A4252
	s_cselect_b32 s20, s36, s60                                // 0000000073FC: 85143C24
	v_readlane_b32 s82, v3, 9                                  // 000000007400: D2890052 00011303
	s_and_b32 s82, s82, 0xffffff                               // 000000007408: 8652FF52 00FFFFFF
	s_cmp_lt_u32 s82, s66                                      // 000000007410: BF0A4252
	s_cselect_b32 s21, s36, s60                                // 000000007414: 85153C24
	s_mov_b64 exec, s[20:21]                                   // 000000007418: BEFE0114
	buffer_store_dword v92, v6, s[8:11], 0 offen               // 00000000741C: E0701000 80025C06
	buffer_store_dword v94, v6, s[8:11], 0 offen offset:128    // 000000007424: E0701080 80025E06
	s_mov_b64 exec, s[36:37]                                   // 00000000742C: BEFE0124
	v_mov_b32_e32 v6, v69                                      // 000000007430: 7E0C0345
	s_mov_b64 s[60:61], 0                                      // 000000007434: BEBC0180
	v_readlane_b32 s82, v3, 10                                 // 000000007438: D2890052 00011503
	s_and_b32 s82, s82, 0xffffff                               // 000000007440: 8652FF52 00FFFFFF
	s_cmp_lt_u32 s82, s66                                      // 000000007448: BF0A4252
	s_cselect_b32 s20, s36, s60                                // 00000000744C: 85143C24
	v_readlane_b32 s82, v3, 11                                 // 000000007450: D2890052 00011703
	s_and_b32 s82, s82, 0xffffff                               // 000000007458: 8652FF52 00FFFFFF
	s_cmp_lt_u32 s82, s66                                      // 000000007460: BF0A4252
	s_cselect_b32 s21, s36, s60                                // 000000007464: 85153C24
	s_mov_b64 exec, s[20:21]                                   // 000000007468: BEFE0114
	buffer_store_dword v93, v6, s[8:11], 0 offen               // 00000000746C: E0701000 80025D06
	buffer_store_dword v95, v6, s[8:11], 0 offen offset:128    // 000000007474: E0701080 80025F06
	s_mov_b64 exec, s[36:37]                                   // 00000000747C: BEFE0124
	v_mov_b32_e32 v6, v70                                      // 000000007480: 7E0C0346
	s_mov_b64 s[60:61], 0                                      // 000000007484: BEBC0180
	v_readlane_b32 s82, v3, 12                                 // 000000007488: D2890052 00011903
	s_and_b32 s82, s82, 0xffffff                               // 000000007490: 8652FF52 00FFFFFF
	s_cmp_lt_u32 s82, s66                                      // 000000007498: BF0A4252
	s_cselect_b32 s20, s36, s60                                // 00000000749C: 85143C24
	v_readlane_b32 s82, v3, 13                                 // 0000000074A0: D2890052 00011B03
	s_and_b32 s82, s82, 0xffffff                               // 0000000074A8: 8652FF52 00FFFFFF
	s_cmp_lt_u32 s82, s66                                      // 0000000074B0: BF0A4252
	s_cselect_b32 s21, s36, s60                                // 0000000074B4: 85153C24
	s_mov_b64 exec, s[20:21]                                   // 0000000074B8: BEFE0114
	buffer_store_dword v96, v6, s[8:11], 0 offen               // 0000000074BC: E0701000 80026006
	buffer_store_dword v98, v6, s[8:11], 0 offen offset:128    // 0000000074C4: E0701080 80026206
	s_mov_b64 exec, s[36:37]                                   // 0000000074CC: BEFE0124
	v_mov_b32_e32 v6, v71                                      // 0000000074D0: 7E0C0347
	s_mov_b64 s[60:61], 0                                      // 0000000074D4: BEBC0180
	v_readlane_b32 s82, v3, 14                                 // 0000000074D8: D2890052 00011D03
	s_and_b32 s82, s82, 0xffffff                               // 0000000074E0: 8652FF52 00FFFFFF
	s_cmp_lt_u32 s82, s66                                      // 0000000074E8: BF0A4252
	s_cselect_b32 s20, s36, s60                                // 0000000074EC: 85143C24
	v_readlane_b32 s82, v3, 15                                 // 0000000074F0: D2890052 00011F03
	s_and_b32 s82, s82, 0xffffff                               // 0000000074F8: 8652FF52 00FFFFFF
	s_cmp_lt_u32 s82, s66                                      // 000000007500: BF0A4252
	s_cselect_b32 s21, s36, s60                                // 000000007504: 85153C24
	s_mov_b64 exec, s[20:21]                                   // 000000007508: BEFE0114
	buffer_store_dword v97, v6, s[8:11], 0 offen               // 00000000750C: E0701000 80026106
	buffer_store_dword v99, v6, s[8:11], 0 offen offset:128    // 000000007514: E0701080 80026306
	s_mov_b64 exec, s[36:37]                                   // 00000000751C: BEFE0124
	v_mov_b32_e32 v6, v72                                      // 000000007520: 7E0C0348
	s_mov_b64 s[60:61], 0                                      // 000000007524: BEBC0180
	v_readlane_b32 s82, v3, 16                                 // 000000007528: D2890052 00012103
	s_and_b32 s82, s82, 0xffffff                               // 000000007530: 8652FF52 00FFFFFF
	s_cmp_lt_u32 s82, s66                                      // 000000007538: BF0A4252
	s_cselect_b32 s20, s36, s60                                // 00000000753C: 85143C24
	v_readlane_b32 s82, v3, 17                                 // 000000007540: D2890052 00012303
	s_and_b32 s82, s82, 0xffffff                               // 000000007548: 8652FF52 00FFFFFF
	s_cmp_lt_u32 s82, s66                                      // 000000007550: BF0A4252
	s_cselect_b32 s21, s36, s60                                // 000000007554: 85153C24
	s_mov_b64 exec, s[20:21]                                   // 000000007558: BEFE0114
	buffer_store_dword v100, v6, s[8:11], 0 offen              // 00000000755C: E0701000 80026406
	buffer_store_dword v102, v6, s[8:11], 0 offen offset:128   // 000000007564: E0701080 80026606
	s_mov_b64 exec, s[36:37]                                   // 00000000756C: BEFE0124
	v_mov_b32_e32 v6, v73                                      // 000000007570: 7E0C0349
	s_mov_b64 s[60:61], 0                                      // 000000007574: BEBC0180
	v_readlane_b32 s82, v3, 18                                 // 000000007578: D2890052 00012503
	s_and_b32 s82, s82, 0xffffff                               // 000000007580: 8652FF52 00FFFFFF
	s_cmp_lt_u32 s82, s66                                      // 000000007588: BF0A4252
	s_cselect_b32 s20, s36, s60                                // 00000000758C: 85143C24
	v_readlane_b32 s82, v3, 19                                 // 000000007590: D2890052 00012703
	s_and_b32 s82, s82, 0xffffff                               // 000000007598: 8652FF52 00FFFFFF
	s_cmp_lt_u32 s82, s66                                      // 0000000075A0: BF0A4252
	s_cselect_b32 s21, s36, s60                                // 0000000075A4: 85153C24
	s_mov_b64 exec, s[20:21]                                   // 0000000075A8: BEFE0114
	buffer_store_dword v101, v6, s[8:11], 0 offen              // 0000000075AC: E0701000 80026506
	buffer_store_dword v103, v6, s[8:11], 0 offen offset:128   // 0000000075B4: E0701080 80026706
	s_mov_b64 exec, s[36:37]                                   // 0000000075BC: BEFE0124
	v_mov_b32_e32 v6, v74                                      // 0000000075C0: 7E0C034A
	s_mov_b64 s[60:61], 0                                      // 0000000075C4: BEBC0180
	v_readlane_b32 s82, v3, 20                                 // 0000000075C8: D2890052 00012903
	s_and_b32 s82, s82, 0xffffff                               // 0000000075D0: 8652FF52 00FFFFFF
	s_cmp_lt_u32 s82, s66                                      // 0000000075D8: BF0A4252
	s_cselect_b32 s20, s36, s60                                // 0000000075DC: 85143C24
	v_readlane_b32 s82, v3, 21                                 // 0000000075E0: D2890052 00012B03
	s_and_b32 s82, s82, 0xffffff                               // 0000000075E8: 8652FF52 00FFFFFF
	s_cmp_lt_u32 s82, s66                                      // 0000000075F0: BF0A4252
	s_cselect_b32 s21, s36, s60                                // 0000000075F4: 85153C24
	s_mov_b64 exec, s[20:21]                                   // 0000000075F8: BEFE0114
	buffer_store_dword v104, v6, s[8:11], 0 offen              // 0000000075FC: E0701000 80026806
	buffer_store_dword v106, v6, s[8:11], 0 offen offset:128   // 000000007604: E0701080 80026A06
	s_mov_b64 exec, s[36:37]                                   // 00000000760C: BEFE0124
	v_mov_b32_e32 v6, v75                                      // 000000007610: 7E0C034B
	s_mov_b64 s[60:61], 0                                      // 000000007614: BEBC0180
	v_readlane_b32 s82, v3, 22                                 // 000000007618: D2890052 00012D03
	s_and_b32 s82, s82, 0xffffff                               // 000000007620: 8652FF52 00FFFFFF
	s_cmp_lt_u32 s82, s66                                      // 000000007628: BF0A4252
	s_cselect_b32 s20, s36, s60                                // 00000000762C: 85143C24
	v_readlane_b32 s82, v3, 23                                 // 000000007630: D2890052 00012F03
	s_and_b32 s82, s82, 0xffffff                               // 000000007638: 8652FF52 00FFFFFF
	s_cmp_lt_u32 s82, s66                                      // 000000007640: BF0A4252
	s_cselect_b32 s21, s36, s60                                // 000000007644: 85153C24
	s_mov_b64 exec, s[20:21]                                   // 000000007648: BEFE0114
	buffer_store_dword v105, v6, s[8:11], 0 offen              // 00000000764C: E0701000 80026906
	buffer_store_dword v107, v6, s[8:11], 0 offen offset:128   // 000000007654: E0701080 80026B06
	s_mov_b64 exec, s[36:37]                                   // 00000000765C: BEFE0124
	v_mov_b32_e32 v6, v76                                      // 000000007660: 7E0C034C
	s_mov_b64 s[60:61], 0                                      // 000000007664: BEBC0180
	v_readlane_b32 s82, v3, 24                                 // 000000007668: D2890052 00013103
	s_and_b32 s82, s82, 0xffffff                               // 000000007670: 8652FF52 00FFFFFF
	s_cmp_lt_u32 s82, s66                                      // 000000007678: BF0A4252
	s_cselect_b32 s20, s36, s60                                // 00000000767C: 85143C24
	v_readlane_b32 s82, v3, 25                                 // 000000007680: D2890052 00013303
	s_and_b32 s82, s82, 0xffffff                               // 000000007688: 8652FF52 00FFFFFF
	s_cmp_lt_u32 s82, s66                                      // 000000007690: BF0A4252
	s_cselect_b32 s21, s36, s60                                // 000000007694: 85153C24
	s_mov_b64 exec, s[20:21]                                   // 000000007698: BEFE0114
	buffer_store_dword v108, v6, s[8:11], 0 offen              // 00000000769C: E0701000 80026C06
	buffer_store_dword v110, v6, s[8:11], 0 offen offset:128   // 0000000076A4: E0701080 80026E06
	s_mov_b64 exec, s[36:37]                                   // 0000000076AC: BEFE0124
	v_mov_b32_e32 v6, v77                                      // 0000000076B0: 7E0C034D
	s_mov_b64 s[60:61], 0                                      // 0000000076B4: BEBC0180
	v_readlane_b32 s82, v3, 26                                 // 0000000076B8: D2890052 00013503
	s_and_b32 s82, s82, 0xffffff                               // 0000000076C0: 8652FF52 00FFFFFF
	s_cmp_lt_u32 s82, s66                                      // 0000000076C8: BF0A4252
	s_cselect_b32 s20, s36, s60                                // 0000000076CC: 85143C24
	v_readlane_b32 s82, v3, 27                                 // 0000000076D0: D2890052 00013703
	s_and_b32 s82, s82, 0xffffff                               // 0000000076D8: 8652FF52 00FFFFFF
	s_cmp_lt_u32 s82, s66                                      // 0000000076E0: BF0A4252
	s_cselect_b32 s21, s36, s60                                // 0000000076E4: 85153C24
	s_mov_b64 exec, s[20:21]                                   // 0000000076E8: BEFE0114
	buffer_store_dword v109, v6, s[8:11], 0 offen              // 0000000076EC: E0701000 80026D06
	buffer_store_dword v111, v6, s[8:11], 0 offen offset:128   // 0000000076F4: E0701080 80026F06
	s_mov_b64 exec, s[36:37]                                   // 0000000076FC: BEFE0124
	v_mov_b32_e32 v6, v78                                      // 000000007700: 7E0C034E
	s_mov_b64 s[60:61], 0                                      // 000000007704: BEBC0180
	v_readlane_b32 s82, v3, 28                                 // 000000007708: D2890052 00013903
	s_and_b32 s82, s82, 0xffffff                               // 000000007710: 8652FF52 00FFFFFF
	s_cmp_lt_u32 s82, s66                                      // 000000007718: BF0A4252
	s_cselect_b32 s20, s36, s60                                // 00000000771C: 85143C24
	v_readlane_b32 s82, v3, 29                                 // 000000007720: D2890052 00013B03
	s_and_b32 s82, s82, 0xffffff                               // 000000007728: 8652FF52 00FFFFFF
	s_cmp_lt_u32 s82, s66                                      // 000000007730: BF0A4252
	s_cselect_b32 s21, s36, s60                                // 000000007734: 85153C24
	s_mov_b64 exec, s[20:21]                                   // 000000007738: BEFE0114
	buffer_store_dword v112, v6, s[8:11], 0 offen              // 00000000773C: E0701000 80027006
	buffer_store_dword v114, v6, s[8:11], 0 offen offset:128   // 000000007744: E0701080 80027206
	s_mov_b64 exec, s[36:37]                                   // 00000000774C: BEFE0124
	v_mov_b32_e32 v6, v79                                      // 000000007750: 7E0C034F
	s_mov_b64 s[60:61], 0                                      // 000000007754: BEBC0180
	v_readlane_b32 s82, v3, 30                                 // 000000007758: D2890052 00013D03
	s_and_b32 s82, s82, 0xffffff                               // 000000007760: 8652FF52 00FFFFFF
	s_cmp_lt_u32 s82, s66                                      // 000000007768: BF0A4252
	s_cselect_b32 s20, s36, s60                                // 00000000776C: 85143C24
	v_readlane_b32 s82, v3, 31                                 // 000000007770: D2890052 00013F03
	s_and_b32 s82, s82, 0xffffff                               // 000000007778: 8652FF52 00FFFFFF
	s_cmp_lt_u32 s82, s66                                      // 000000007780: BF0A4252
	s_cselect_b32 s21, s36, s60                                // 000000007784: 85153C24
	s_mov_b64 exec, s[20:21]                                   // 000000007788: BEFE0114
	buffer_store_dword v113, v6, s[8:11], 0 offen              // 00000000778C: E0701000 80027106
	buffer_store_dword v115, v6, s[8:11], 0 offen offset:128   // 000000007794: E0701080 80027306
	s_mov_b64 exec, s[36:37]                                   // 00000000779C: BEFE0124
	v_mov_b32_e32 v6, v80                                      // 0000000077A0: 7E0C0350
	s_mov_b64 s[60:61], 0                                      // 0000000077A4: BEBC0180
	v_readlane_b32 s82, v3, 32                                 // 0000000077A8: D2890052 00014103
	s_and_b32 s82, s82, 0xffffff                               // 0000000077B0: 8652FF52 00FFFFFF
	s_cmp_lt_u32 s82, s66                                      // 0000000077B8: BF0A4252
	s_cselect_b32 s20, s36, s60                                // 0000000077BC: 85143C24
	v_readlane_b32 s82, v3, 33                                 // 0000000077C0: D2890052 00014303
	s_and_b32 s82, s82, 0xffffff                               // 0000000077C8: 8652FF52 00FFFFFF
	s_cmp_lt_u32 s82, s66                                      // 0000000077D0: BF0A4252
	s_cselect_b32 s21, s36, s60                                // 0000000077D4: 85153C24
	s_mov_b64 exec, s[20:21]                                   // 0000000077D8: BEFE0114
	buffer_store_dword v116, v6, s[8:11], 0 offen              // 0000000077DC: E0701000 80027406
	buffer_store_dword v118, v6, s[8:11], 0 offen offset:128   // 0000000077E4: E0701080 80027606
	s_mov_b64 exec, s[36:37]                                   // 0000000077EC: BEFE0124
	v_mov_b32_e32 v6, v81                                      // 0000000077F0: 7E0C0351
	s_mov_b64 s[60:61], 0                                      // 0000000077F4: BEBC0180
	v_readlane_b32 s82, v3, 34                                 // 0000000077F8: D2890052 00014503
	s_and_b32 s82, s82, 0xffffff                               // 000000007800: 8652FF52 00FFFFFF
	s_cmp_lt_u32 s82, s66                                      // 000000007808: BF0A4252
	s_cselect_b32 s20, s36, s60                                // 00000000780C: 85143C24
	v_readlane_b32 s82, v3, 35                                 // 000000007810: D2890052 00014703
	s_and_b32 s82, s82, 0xffffff                               // 000000007818: 8652FF52 00FFFFFF
	s_cmp_lt_u32 s82, s66                                      // 000000007820: BF0A4252
	s_cselect_b32 s21, s36, s60                                // 000000007824: 85153C24
	s_mov_b64 exec, s[20:21]                                   // 000000007828: BEFE0114
	buffer_store_dword v117, v6, s[8:11], 0 offen              // 00000000782C: E0701000 80027506
	buffer_store_dword v119, v6, s[8:11], 0 offen offset:128   // 000000007834: E0701080 80027706
	s_mov_b64 exec, s[36:37]                                   // 00000000783C: BEFE0124
	s_branch label_3556                                        // 000000007840: BF8221C2

0000000000007844 <label_1391>:
	ds_write_b64 v20, v[84:85]                                 // 000000007844: D89A0000 00005414
	ds_write_b64 v20, v[88:89] offset:4352                     // 00000000784C: D89A1100 00005814
	ds_write_b64 v20, v[92:93] offset:8704                     // 000000007854: D89A2200 00005C14
	ds_write_b64 v20, v[96:97] offset:13056                    // 00000000785C: D89A3300 00006014
	ds_write_b64 v20, v[100:101] offset:17408                  // 000000007864: D89A4400 00006414
	ds_write_b64 v20, v[104:105] offset:21760                  // 00000000786C: D89A5500 00006814
	ds_write_b64 v20, v[108:109] offset:26112                  // 000000007874: D89A6600 00006C14
	ds_write_b64 v20, v[112:113] offset:30464                  // 00000000787C: D89A7700 00007014
	ds_write_b64 v20, v[116:117] offset:34816                  // 000000007884: D89A8800 00007414
	ds_write_b64 v20, v[120:121] offset:2176                   // 00000000788C: D89A0880 00007814
	ds_write_b64 v20, v[124:125] offset:6528                   // 000000007894: D89A1980 00007C14
	ds_write_b64 v20, v[128:129] offset:10880                  // 00000000789C: D89A2A80 00008014
	ds_write_b64 v20, v[132:133] offset:15232                  // 0000000078A4: D89A3B80 00008414
	ds_write_b64 v20, v[136:137] offset:19584                  // 0000000078AC: D89A4C80 00008814
	ds_write_b64 v20, v[140:141] offset:23936                  // 0000000078B4: D89A5D80 00008C14
	ds_write_b64 v20, v[144:145] offset:28288                  // 0000000078BC: D89A6E80 00009014
	ds_write_b64 v20, v[148:149] offset:32640                  // 0000000078C4: D89A7F80 00009414
	ds_write_b64 v20, v[152:153] offset:36992                  // 0000000078CC: D89A9080 00009814
	v_lshrrev_b32_e32 v4, 5, v0                                // 0000000078D4: 20080085
	v_xor_b32_e32 v5, 1, v4                                    // 0000000078D8: 2A0A0881
	s_mul_i32 s60, s65, 2                                      // 0000000078DC: 923C8241
	s_cmp_eq_u32 s88, 0                                        // 0000000078E0: BF068058
	s_cselect_b32 s61, 1, 4                                    // 0000000078E4: 853D8481
	s_mul_i32 s60, s61, s60                                    // 0000000078E8: 923C3C3D
	v_readlane_b32 s82, v3, 0                                  // 0000000078EC: D2890052 00010103
	s_lshr_b32 s61, s82, 24                                    // 0000000078F4: 8F3D9852
	s_and_b32 s82, s82, 0xffffff                               // 0000000078F8: 8652FF52 00FFFFFF
	s_mul_i32 s82, s82, s71                                    // 000000007900: 92524752
	s_mul_i32 s61, s60, s61                                    // 000000007904: 923D3D3C
	s_add_u32 s82, s82, s61                                    // 000000007908: 80523D52
	v_mul_lo_u32 v6, v5, s82                                   // 00000000790C: D2850006 0000A505
	v_readlane_b32 s82, v3, 1                                  // 000000007914: D2890052 00010303
	s_lshr_b32 s61, s82, 24                                    // 00000000791C: 8F3D9852
	s_and_b32 s82, s82, 0xffffff                               // 000000007920: 8652FF52 00FFFFFF
	s_mul_i32 s82, s82, s71                                    // 000000007928: 92524752
	s_mul_i32 s61, s60, s61                                    // 00000000792C: 923D3D3C
	s_add_u32 s82, s82, s61                                    // 000000007930: 80523D52
	v_mul_lo_u32 v7, v4, s82                                   // 000000007934: D2850007 0000A504
	v_add_u32_e32 v64, v6, v7                                  // 00000000793C: 68800F06
	v_readlane_b32 s82, v3, 2                                  // 000000007940: D2890052 00010503
	s_lshr_b32 s61, s82, 24                                    // 000000007948: 8F3D9852
	s_and_b32 s82, s82, 0xffffff                               // 00000000794C: 8652FF52 00FFFFFF
	s_mul_i32 s82, s82, s71                                    // 000000007954: 92524752
	s_mul_i32 s61, s60, s61                                    // 000000007958: 923D3D3C
	s_add_u32 s82, s82, s61                                    // 00000000795C: 80523D52
	v_mul_lo_u32 v6, v5, s82                                   // 000000007960: D2850006 0000A505
	v_readlane_b32 s82, v3, 3                                  // 000000007968: D2890052 00010703
	s_lshr_b32 s61, s82, 24                                    // 000000007970: 8F3D9852
	s_and_b32 s82, s82, 0xffffff                               // 000000007974: 8652FF52 00FFFFFF
	s_mul_i32 s82, s82, s71                                    // 00000000797C: 92524752
	s_mul_i32 s61, s60, s61                                    // 000000007980: 923D3D3C
	s_add_u32 s82, s82, s61                                    // 000000007984: 80523D52
	v_mul_lo_u32 v7, v4, s82                                   // 000000007988: D2850007 0000A504
	v_add_u32_e32 v65, v6, v7                                  // 000000007990: 68820F06
	v_readlane_b32 s82, v3, 4                                  // 000000007994: D2890052 00010903
	s_lshr_b32 s61, s82, 24                                    // 00000000799C: 8F3D9852
	s_and_b32 s82, s82, 0xffffff                               // 0000000079A0: 8652FF52 00FFFFFF
	s_mul_i32 s82, s82, s71                                    // 0000000079A8: 92524752
	s_mul_i32 s61, s60, s61                                    // 0000000079AC: 923D3D3C
	s_add_u32 s82, s82, s61                                    // 0000000079B0: 80523D52
	v_mul_lo_u32 v6, v5, s82                                   // 0000000079B4: D2850006 0000A505
	v_readlane_b32 s82, v3, 5                                  // 0000000079BC: D2890052 00010B03
	s_lshr_b32 s61, s82, 24                                    // 0000000079C4: 8F3D9852
	s_and_b32 s82, s82, 0xffffff                               // 0000000079C8: 8652FF52 00FFFFFF
	s_mul_i32 s82, s82, s71                                    // 0000000079D0: 92524752
	s_mul_i32 s61, s60, s61                                    // 0000000079D4: 923D3D3C
	s_add_u32 s82, s82, s61                                    // 0000000079D8: 80523D52
	v_mul_lo_u32 v7, v4, s82                                   // 0000000079DC: D2850007 0000A504
	v_add_u32_e32 v66, v6, v7                                  // 0000000079E4: 68840F06
	v_readlane_b32 s82, v3, 6                                  // 0000000079E8: D2890052 00010D03
	s_lshr_b32 s61, s82, 24                                    // 0000000079F0: 8F3D9852
	s_and_b32 s82, s82, 0xffffff                               // 0000000079F4: 8652FF52 00FFFFFF
	s_mul_i32 s82, s82, s71                                    // 0000000079FC: 92524752
	s_mul_i32 s61, s60, s61                                    // 000000007A00: 923D3D3C
	s_add_u32 s82, s82, s61                                    // 000000007A04: 80523D52
	v_mul_lo_u32 v6, v5, s82                                   // 000000007A08: D2850006 0000A505
	v_readlane_b32 s82, v3, 7                                  // 000000007A10: D2890052 00010F03
	s_lshr_b32 s61, s82, 24                                    // 000000007A18: 8F3D9852
	s_and_b32 s82, s82, 0xffffff                               // 000000007A1C: 8652FF52 00FFFFFF
	s_mul_i32 s82, s82, s71                                    // 000000007A24: 92524752
	s_mul_i32 s61, s60, s61                                    // 000000007A28: 923D3D3C
	s_add_u32 s82, s82, s61                                    // 000000007A2C: 80523D52
	v_mul_lo_u32 v7, v4, s82                                   // 000000007A30: D2850007 0000A504
	v_add_u32_e32 v67, v6, v7                                  // 000000007A38: 68860F06
	v_readlane_b32 s82, v3, 8                                  // 000000007A3C: D2890052 00011103
	s_lshr_b32 s61, s82, 24                                    // 000000007A44: 8F3D9852
	s_and_b32 s82, s82, 0xffffff                               // 000000007A48: 8652FF52 00FFFFFF
	s_mul_i32 s82, s82, s71                                    // 000000007A50: 92524752
	s_mul_i32 s61, s60, s61                                    // 000000007A54: 923D3D3C
	s_add_u32 s82, s82, s61                                    // 000000007A58: 80523D52
	v_mul_lo_u32 v6, v5, s82                                   // 000000007A5C: D2850006 0000A505
	v_readlane_b32 s82, v3, 9                                  // 000000007A64: D2890052 00011303
	s_lshr_b32 s61, s82, 24                                    // 000000007A6C: 8F3D9852
	s_and_b32 s82, s82, 0xffffff                               // 000000007A70: 8652FF52 00FFFFFF
	s_mul_i32 s82, s82, s71                                    // 000000007A78: 92524752
	s_mul_i32 s61, s60, s61                                    // 000000007A7C: 923D3D3C
	s_add_u32 s82, s82, s61                                    // 000000007A80: 80523D52
	v_mul_lo_u32 v7, v4, s82                                   // 000000007A84: D2850007 0000A504
	v_add_u32_e32 v68, v6, v7                                  // 000000007A8C: 68880F06
	v_readlane_b32 s82, v3, 10                                 // 000000007A90: D2890052 00011503
	s_lshr_b32 s61, s82, 24                                    // 000000007A98: 8F3D9852
	s_and_b32 s82, s82, 0xffffff                               // 000000007A9C: 8652FF52 00FFFFFF
	s_mul_i32 s82, s82, s71                                    // 000000007AA4: 92524752
	s_mul_i32 s61, s60, s61                                    // 000000007AA8: 923D3D3C
	s_add_u32 s82, s82, s61                                    // 000000007AAC: 80523D52
	v_mul_lo_u32 v6, v5, s82                                   // 000000007AB0: D2850006 0000A505
	v_readlane_b32 s82, v3, 11                                 // 000000007AB8: D2890052 00011703
	s_lshr_b32 s61, s82, 24                                    // 000000007AC0: 8F3D9852
	s_and_b32 s82, s82, 0xffffff                               // 000000007AC4: 8652FF52 00FFFFFF
	s_mul_i32 s82, s82, s71                                    // 000000007ACC: 92524752
	s_mul_i32 s61, s60, s61                                    // 000000007AD0: 923D3D3C
	s_add_u32 s82, s82, s61                                    // 000000007AD4: 80523D52
	v_mul_lo_u32 v7, v4, s82                                   // 000000007AD8: D2850007 0000A504
	v_add_u32_e32 v69, v6, v7                                  // 000000007AE0: 688A0F06
	v_readlane_b32 s82, v3, 12                                 // 000000007AE4: D2890052 00011903
	s_lshr_b32 s61, s82, 24                                    // 000000007AEC: 8F3D9852
	s_and_b32 s82, s82, 0xffffff                               // 000000007AF0: 8652FF52 00FFFFFF
	s_mul_i32 s82, s82, s71                                    // 000000007AF8: 92524752
	s_mul_i32 s61, s60, s61                                    // 000000007AFC: 923D3D3C
	s_add_u32 s82, s82, s61                                    // 000000007B00: 80523D52
	v_mul_lo_u32 v6, v5, s82                                   // 000000007B04: D2850006 0000A505
	v_readlane_b32 s82, v3, 13                                 // 000000007B0C: D2890052 00011B03
	s_lshr_b32 s61, s82, 24                                    // 000000007B14: 8F3D9852
	s_and_b32 s82, s82, 0xffffff                               // 000000007B18: 8652FF52 00FFFFFF
	s_mul_i32 s82, s82, s71                                    // 000000007B20: 92524752
	s_mul_i32 s61, s60, s61                                    // 000000007B24: 923D3D3C
	s_add_u32 s82, s82, s61                                    // 000000007B28: 80523D52
	v_mul_lo_u32 v7, v4, s82                                   // 000000007B2C: D2850007 0000A504
	v_add_u32_e32 v70, v6, v7                                  // 000000007B34: 688C0F06
	v_readlane_b32 s82, v3, 14                                 // 000000007B38: D2890052 00011D03
	s_lshr_b32 s61, s82, 24                                    // 000000007B40: 8F3D9852
	s_and_b32 s82, s82, 0xffffff                               // 000000007B44: 8652FF52 00FFFFFF
	s_mul_i32 s82, s82, s71                                    // 000000007B4C: 92524752
	s_mul_i32 s61, s60, s61                                    // 000000007B50: 923D3D3C
	s_add_u32 s82, s82, s61                                    // 000000007B54: 80523D52
	v_mul_lo_u32 v6, v5, s82                                   // 000000007B58: D2850006 0000A505
	v_readlane_b32 s82, v3, 15                                 // 000000007B60: D2890052 00011F03
	s_lshr_b32 s61, s82, 24                                    // 000000007B68: 8F3D9852
	s_and_b32 s82, s82, 0xffffff                               // 000000007B6C: 8652FF52 00FFFFFF
	s_mul_i32 s82, s82, s71                                    // 000000007B74: 92524752
	s_mul_i32 s61, s60, s61                                    // 000000007B78: 923D3D3C
	s_add_u32 s82, s82, s61                                    // 000000007B7C: 80523D52
	v_mul_lo_u32 v7, v4, s82                                   // 000000007B80: D2850007 0000A504
	v_add_u32_e32 v71, v6, v7                                  // 000000007B88: 688E0F06
	v_readlane_b32 s82, v3, 16                                 // 000000007B8C: D2890052 00012103
	s_lshr_b32 s61, s82, 24                                    // 000000007B94: 8F3D9852
	s_and_b32 s82, s82, 0xffffff                               // 000000007B98: 8652FF52 00FFFFFF
	s_mul_i32 s82, s82, s71                                    // 000000007BA0: 92524752
	s_mul_i32 s61, s60, s61                                    // 000000007BA4: 923D3D3C
	s_add_u32 s82, s82, s61                                    // 000000007BA8: 80523D52
	v_mul_lo_u32 v6, v5, s82                                   // 000000007BAC: D2850006 0000A505
	v_readlane_b32 s82, v3, 17                                 // 000000007BB4: D2890052 00012303
	s_lshr_b32 s61, s82, 24                                    // 000000007BBC: 8F3D9852
	s_and_b32 s82, s82, 0xffffff                               // 000000007BC0: 8652FF52 00FFFFFF
	s_mul_i32 s82, s82, s71                                    // 000000007BC8: 92524752
	s_mul_i32 s61, s60, s61                                    // 000000007BCC: 923D3D3C
	s_add_u32 s82, s82, s61                                    // 000000007BD0: 80523D52
	v_mul_lo_u32 v7, v4, s82                                   // 000000007BD4: D2850007 0000A504
	v_add_u32_e32 v72, v6, v7                                  // 000000007BDC: 68900F06
	v_readlane_b32 s82, v3, 18                                 // 000000007BE0: D2890052 00012503
	s_lshr_b32 s61, s82, 24                                    // 000000007BE8: 8F3D9852
	s_and_b32 s82, s82, 0xffffff                               // 000000007BEC: 8652FF52 00FFFFFF
	s_mul_i32 s82, s82, s71                                    // 000000007BF4: 92524752
	s_mul_i32 s61, s60, s61                                    // 000000007BF8: 923D3D3C
	s_add_u32 s82, s82, s61                                    // 000000007BFC: 80523D52
	v_mul_lo_u32 v6, v5, s82                                   // 000000007C00: D2850006 0000A505
	v_readlane_b32 s82, v3, 19                                 // 000000007C08: D2890052 00012703
	s_lshr_b32 s61, s82, 24                                    // 000000007C10: 8F3D9852
	s_and_b32 s82, s82, 0xffffff                               // 000000007C14: 8652FF52 00FFFFFF
	s_mul_i32 s82, s82, s71                                    // 000000007C1C: 92524752
	s_mul_i32 s61, s60, s61                                    // 000000007C20: 923D3D3C
	s_add_u32 s82, s82, s61                                    // 000000007C24: 80523D52
	v_mul_lo_u32 v7, v4, s82                                   // 000000007C28: D2850007 0000A504
	v_add_u32_e32 v73, v6, v7                                  // 000000007C30: 68920F06
	v_readlane_b32 s82, v3, 20                                 // 000000007C34: D2890052 00012903
	s_lshr_b32 s61, s82, 24                                    // 000000007C3C: 8F3D9852
	s_and_b32 s82, s82, 0xffffff                               // 000000007C40: 8652FF52 00FFFFFF
	s_mul_i32 s82, s82, s71                                    // 000000007C48: 92524752
	s_mul_i32 s61, s60, s61                                    // 000000007C4C: 923D3D3C
	s_add_u32 s82, s82, s61                                    // 000000007C50: 80523D52
	v_mul_lo_u32 v6, v5, s82                                   // 000000007C54: D2850006 0000A505
	v_readlane_b32 s82, v3, 21                                 // 000000007C5C: D2890052 00012B03
	s_lshr_b32 s61, s82, 24                                    // 000000007C64: 8F3D9852
	s_and_b32 s82, s82, 0xffffff                               // 000000007C68: 8652FF52 00FFFFFF
	s_mul_i32 s82, s82, s71                                    // 000000007C70: 92524752
	s_mul_i32 s61, s60, s61                                    // 000000007C74: 923D3D3C
	s_add_u32 s82, s82, s61                                    // 000000007C78: 80523D52
	v_mul_lo_u32 v7, v4, s82                                   // 000000007C7C: D2850007 0000A504
	v_add_u32_e32 v74, v6, v7                                  // 000000007C84: 68940F06
	v_readlane_b32 s82, v3, 22                                 // 000000007C88: D2890052 00012D03
	s_lshr_b32 s61, s82, 24                                    // 000000007C90: 8F3D9852
	s_and_b32 s82, s82, 0xffffff                               // 000000007C94: 8652FF52 00FFFFFF
	s_mul_i32 s82, s82, s71                                    // 000000007C9C: 92524752
	s_mul_i32 s61, s60, s61                                    // 000000007CA0: 923D3D3C
	s_add_u32 s82, s82, s61                                    // 000000007CA4: 80523D52
	v_mul_lo_u32 v6, v5, s82                                   // 000000007CA8: D2850006 0000A505
	v_readlane_b32 s82, v3, 23                                 // 000000007CB0: D2890052 00012F03
	s_lshr_b32 s61, s82, 24                                    // 000000007CB8: 8F3D9852
	s_and_b32 s82, s82, 0xffffff                               // 000000007CBC: 8652FF52 00FFFFFF
	s_mul_i32 s82, s82, s71                                    // 000000007CC4: 92524752
	s_mul_i32 s61, s60, s61                                    // 000000007CC8: 923D3D3C
	s_add_u32 s82, s82, s61                                    // 000000007CCC: 80523D52
	v_mul_lo_u32 v7, v4, s82                                   // 000000007CD0: D2850007 0000A504
	v_add_u32_e32 v75, v6, v7                                  // 000000007CD8: 68960F06
	v_readlane_b32 s82, v3, 24                                 // 000000007CDC: D2890052 00013103
	s_lshr_b32 s61, s82, 24                                    // 000000007CE4: 8F3D9852
	s_and_b32 s82, s82, 0xffffff                               // 000000007CE8: 8652FF52 00FFFFFF
	s_mul_i32 s82, s82, s71                                    // 000000007CF0: 92524752
	s_mul_i32 s61, s60, s61                                    // 000000007CF4: 923D3D3C
	s_add_u32 s82, s82, s61                                    // 000000007CF8: 80523D52
	v_mul_lo_u32 v6, v5, s82                                   // 000000007CFC: D2850006 0000A505
	v_readlane_b32 s82, v3, 25                                 // 000000007D04: D2890052 00013303
	s_lshr_b32 s61, s82, 24                                    // 000000007D0C: 8F3D9852
	s_and_b32 s82, s82, 0xffffff                               // 000000007D10: 8652FF52 00FFFFFF
	s_mul_i32 s82, s82, s71                                    // 000000007D18: 92524752
	s_mul_i32 s61, s60, s61                                    // 000000007D1C: 923D3D3C
	s_add_u32 s82, s82, s61                                    // 000000007D20: 80523D52
	v_mul_lo_u32 v7, v4, s82                                   // 000000007D24: D2850007 0000A504
	v_add_u32_e32 v76, v6, v7                                  // 000000007D2C: 68980F06
	v_readlane_b32 s82, v3, 26                                 // 000000007D30: D2890052 00013503
	s_lshr_b32 s61, s82, 24                                    // 000000007D38: 8F3D9852
	s_and_b32 s82, s82, 0xffffff                               // 000000007D3C: 8652FF52 00FFFFFF
	s_mul_i32 s82, s82, s71                                    // 000000007D44: 92524752
	s_mul_i32 s61, s60, s61                                    // 000000007D48: 923D3D3C
	s_add_u32 s82, s82, s61                                    // 000000007D4C: 80523D52
	v_mul_lo_u32 v6, v5, s82                                   // 000000007D50: D2850006 0000A505
	v_readlane_b32 s82, v3, 27                                 // 000000007D58: D2890052 00013703
	s_lshr_b32 s61, s82, 24                                    // 000000007D60: 8F3D9852
	s_and_b32 s82, s82, 0xffffff                               // 000000007D64: 8652FF52 00FFFFFF
	s_mul_i32 s82, s82, s71                                    // 000000007D6C: 92524752
	s_mul_i32 s61, s60, s61                                    // 000000007D70: 923D3D3C
	s_add_u32 s82, s82, s61                                    // 000000007D74: 80523D52
	v_mul_lo_u32 v7, v4, s82                                   // 000000007D78: D2850007 0000A504
	v_add_u32_e32 v77, v6, v7                                  // 000000007D80: 689A0F06
	v_readlane_b32 s82, v3, 28                                 // 000000007D84: D2890052 00013903
	s_lshr_b32 s61, s82, 24                                    // 000000007D8C: 8F3D9852
	s_and_b32 s82, s82, 0xffffff                               // 000000007D90: 8652FF52 00FFFFFF
	s_mul_i32 s82, s82, s71                                    // 000000007D98: 92524752
	s_mul_i32 s61, s60, s61                                    // 000000007D9C: 923D3D3C
	s_add_u32 s82, s82, s61                                    // 000000007DA0: 80523D52
	v_mul_lo_u32 v6, v5, s82                                   // 000000007DA4: D2850006 0000A505
	v_readlane_b32 s82, v3, 29                                 // 000000007DAC: D2890052 00013B03
	s_lshr_b32 s61, s82, 24                                    // 000000007DB4: 8F3D9852
	s_and_b32 s82, s82, 0xffffff                               // 000000007DB8: 8652FF52 00FFFFFF
	s_mul_i32 s82, s82, s71                                    // 000000007DC0: 92524752
	s_mul_i32 s61, s60, s61                                    // 000000007DC4: 923D3D3C
	s_add_u32 s82, s82, s61                                    // 000000007DC8: 80523D52
	v_mul_lo_u32 v7, v4, s82                                   // 000000007DCC: D2850007 0000A504
	v_add_u32_e32 v78, v6, v7                                  // 000000007DD4: 689C0F06
	v_readlane_b32 s82, v3, 30                                 // 000000007DD8: D2890052 00013D03
	s_lshr_b32 s61, s82, 24                                    // 000000007DE0: 8F3D9852
	s_and_b32 s82, s82, 0xffffff                               // 000000007DE4: 8652FF52 00FFFFFF
	s_mul_i32 s82, s82, s71                                    // 000000007DEC: 92524752
	s_mul_i32 s61, s60, s61                                    // 000000007DF0: 923D3D3C
	s_add_u32 s82, s82, s61                                    // 000000007DF4: 80523D52
	v_mul_lo_u32 v6, v5, s82                                   // 000000007DF8: D2850006 0000A505
	v_readlane_b32 s82, v3, 31                                 // 000000007E00: D2890052 00013F03
	s_lshr_b32 s61, s82, 24                                    // 000000007E08: 8F3D9852
	s_and_b32 s82, s82, 0xffffff                               // 000000007E0C: 8652FF52 00FFFFFF
	s_mul_i32 s82, s82, s71                                    // 000000007E14: 92524752
	s_mul_i32 s61, s60, s61                                    // 000000007E18: 923D3D3C
	s_add_u32 s82, s82, s61                                    // 000000007E1C: 80523D52
	v_mul_lo_u32 v7, v4, s82                                   // 000000007E20: D2850007 0000A504
	v_add_u32_e32 v79, v6, v7                                  // 000000007E28: 689E0F06
	v_readlane_b32 s82, v3, 32                                 // 000000007E2C: D2890052 00014103
	s_lshr_b32 s61, s82, 24                                    // 000000007E34: 8F3D9852
	s_and_b32 s82, s82, 0xffffff                               // 000000007E38: 8652FF52 00FFFFFF
	s_mul_i32 s82, s82, s71                                    // 000000007E40: 92524752
	s_mul_i32 s61, s60, s61                                    // 000000007E44: 923D3D3C
	s_add_u32 s82, s82, s61                                    // 000000007E48: 80523D52
	v_mul_lo_u32 v6, v5, s82                                   // 000000007E4C: D2850006 0000A505
	v_readlane_b32 s82, v3, 33                                 // 000000007E54: D2890052 00014303
	s_lshr_b32 s61, s82, 24                                    // 000000007E5C: 8F3D9852
	s_and_b32 s82, s82, 0xffffff                               // 000000007E60: 8652FF52 00FFFFFF
	s_mul_i32 s82, s82, s71                                    // 000000007E68: 92524752
	s_mul_i32 s61, s60, s61                                    // 000000007E6C: 923D3D3C
	s_add_u32 s82, s82, s61                                    // 000000007E70: 80523D52
	v_mul_lo_u32 v7, v4, s82                                   // 000000007E74: D2850007 0000A504
	v_add_u32_e32 v80, v6, v7                                  // 000000007E7C: 68A00F06
	v_readlane_b32 s82, v3, 34                                 // 000000007E80: D2890052 00014503
	s_lshr_b32 s61, s82, 24                                    // 000000007E88: 8F3D9852
	s_and_b32 s82, s82, 0xffffff                               // 000000007E8C: 8652FF52 00FFFFFF
	s_mul_i32 s82, s82, s71                                    // 000000007E94: 92524752
	s_mul_i32 s61, s60, s61                                    // 000000007E98: 923D3D3C
	s_add_u32 s82, s82, s61                                    // 000000007E9C: 80523D52
	v_mul_lo_u32 v6, v5, s82                                   // 000000007EA0: D2850006 0000A505
	v_readlane_b32 s82, v3, 35                                 // 000000007EA8: D2890052 00014703
	s_lshr_b32 s61, s82, 24                                    // 000000007EB0: 8F3D9852
	s_and_b32 s82, s82, 0xffffff                               // 000000007EB4: 8652FF52 00FFFFFF
	s_mul_i32 s82, s82, s71                                    // 000000007EBC: 92524752
	s_mul_i32 s61, s60, s61                                    // 000000007EC0: 923D3D3C
	s_add_u32 s82, s82, s61                                    // 000000007EC4: 80523D52
	v_mul_lo_u32 v7, v4, s82                                   // 000000007EC8: D2850007 0000A504
	v_add_u32_e32 v81, v6, v7                                  // 000000007ED0: 68A20F06
	v_and_b32_e32 v4, 31, v0                                   // 000000007ED4: 2608009F
	v_lshrrev_b32_e32 v4, 1, v4                                // 000000007ED8: 20080881
	s_cmp_eq_u32 s88, 0                                        // 000000007EDC: BF068058
	s_cselect_b32 s61, 2, 4                                    // 000000007EE0: 853D8482
	v_mul_lo_u32 v4, v4, s61                                   // 000000007EE4: D2850004 00007B04
	v_and_b32_e64 v5, v0, 1                                    // 000000007EEC: D1130005 00010300
	v_add_u32_e32 v4, v4, v5                                   // 000000007EF4: 68080B04
	v_lshlrev_b32_e32 v4, 2, v4                                // 000000007EF8: 24080882
	v_add_u32_e32 v64, v64, v4                                 // 000000007EFC: 68800940
	v_add_u32_e32 v65, v65, v4                                 // 000000007F00: 68820941
	v_add_u32_e32 v66, v66, v4                                 // 000000007F04: 68840942
	v_add_u32_e32 v67, v67, v4                                 // 000000007F08: 68860943
	v_add_u32_e32 v68, v68, v4                                 // 000000007F0C: 68880944
	v_add_u32_e32 v69, v69, v4                                 // 000000007F10: 688A0945
	v_add_u32_e32 v70, v70, v4                                 // 000000007F14: 688C0946
	v_add_u32_e32 v71, v71, v4                                 // 000000007F18: 688E0947
	v_add_u32_e32 v72, v72, v4                                 // 000000007F1C: 68900948
	v_add_u32_e32 v73, v73, v4                                 // 000000007F20: 68920949
	v_add_u32_e32 v74, v74, v4                                 // 000000007F24: 6894094A
	v_add_u32_e32 v75, v75, v4                                 // 000000007F28: 6896094B
	v_add_u32_e32 v76, v76, v4                                 // 000000007F2C: 6898094C
	v_add_u32_e32 v77, v77, v4                                 // 000000007F30: 689A094D
	v_add_u32_e32 v78, v78, v4                                 // 000000007F34: 689C094E
	v_add_u32_e32 v79, v79, v4                                 // 000000007F38: 689E094F
	v_add_u32_e32 v80, v80, v4                                 // 000000007F3C: 68A00950
	v_add_u32_e32 v81, v81, v4                                 // 000000007F40: 68A20951
	s_waitcnt lgkmcnt(0)                                       // 000000007F44: BF8CC07F
	s_barrier                                                  // 000000007F48: BF8A0000
	ds_read_b32 v84, v21                                       // 000000007F4C: D86C0000 54000015
	ds_read_b32 v85, v21 offset:64                             // 000000007F54: D86C0040 55000015
	ds_read_b32 v88, v21 offset:2176                           // 000000007F5C: D86C0880 58000015
	ds_read_b32 v89, v21 offset:2240                           // 000000007F64: D86C08C0 59000015
	ds_read_b32 v92, v21 offset:4352                           // 000000007F6C: D86C1100 5C000015
	ds_read_b32 v93, v21 offset:4416                           // 000000007F74: D86C1140 5D000015
	ds_read_b32 v96, v21 offset:6528                           // 000000007F7C: D86C1980 60000015
	ds_read_b32 v97, v21 offset:6592                           // 000000007F84: D86C19C0 61000015
	ds_read_b32 v100, v21 offset:8704                          // 000000007F8C: D86C2200 64000015
	ds_read_b32 v101, v21 offset:8768                          // 000000007F94: D86C2240 65000015
	ds_read_b32 v104, v21 offset:10880                         // 000000007F9C: D86C2A80 68000015
	ds_read_b32 v105, v21 offset:10944                         // 000000007FA4: D86C2AC0 69000015
	ds_read_b32 v108, v21 offset:13056                         // 000000007FAC: D86C3300 6C000015
	ds_read_b32 v109, v21 offset:13120                         // 000000007FB4: D86C3340 6D000015
	ds_read_b32 v112, v21 offset:15232                         // 000000007FBC: D86C3B80 70000015
	ds_read_b32 v113, v21 offset:15296                         // 000000007FC4: D86C3BC0 71000015
	ds_read_b32 v116, v21 offset:17408                         // 000000007FCC: D86C4400 74000015
	ds_read_b32 v117, v21 offset:17472                         // 000000007FD4: D86C4440 75000015
	ds_read_b32 v120, v21 offset:19584                         // 000000007FDC: D86C4C80 78000015
	ds_read_b32 v121, v21 offset:19648                         // 000000007FE4: D86C4CC0 79000015
	ds_read_b32 v124, v21 offset:21760                         // 000000007FEC: D86C5500 7C000015
	ds_read_b32 v125, v21 offset:21824                         // 000000007FF4: D86C5540 7D000015
	ds_read_b32 v128, v21 offset:23936                         // 000000007FFC: D86C5D80 80000015
	ds_read_b32 v129, v21 offset:24000                         // 000000008004: D86C5DC0 81000015
	ds_read_b32 v132, v21 offset:26112                         // 00000000800C: D86C6600 84000015
	ds_read_b32 v133, v21 offset:26176                         // 000000008014: D86C6640 85000015
	ds_read_b32 v136, v21 offset:28288                         // 00000000801C: D86C6E80 88000015
	ds_read_b32 v137, v21 offset:28352                         // 000000008024: D86C6EC0 89000015
	ds_read_b32 v140, v21 offset:30464                         // 00000000802C: D86C7700 8C000015
	ds_read_b32 v141, v21 offset:30528                         // 000000008034: D86C7740 8D000015
	ds_read_b32 v144, v21 offset:32640                         // 00000000803C: D86C7F80 90000015
	ds_read_b32 v145, v21 offset:32704                         // 000000008044: D86C7FC0 91000015
	ds_read_b32 v148, v21 offset:34816                         // 00000000804C: D86C8800 94000015
	ds_read_b32 v149, v21 offset:34880                         // 000000008054: D86C8840 95000015
	ds_read_b32 v152, v21 offset:36992                         // 00000000805C: D86C9080 98000015
	ds_read_b32 v153, v21 offset:37056                         // 000000008064: D86C90C0 99000015
	s_waitcnt lgkmcnt(0)                                       // 00000000806C: BF8CC07F
	s_mov_b32 s36, -1                                          // 000000008070: BEA400C1
	s_mov_b32 s37, -1                                          // 000000008074: BEA500C1
	v_mov_b32_e32 v7, 0                                        // 000000008078: 7E0E0280
	s_mov_b64 exec, s[36:37]                                   // 00000000807C: BEFE0124
	v_mov_b32_e32 v6, v64                                      // 000000008080: 7E0C0340
	s_mov_b64 s[60:61], 0                                      // 000000008084: BEBC0180
	v_readlane_b32 s82, v3, 0                                  // 000000008088: D2890052 00010103
	s_and_b32 s82, s82, 0xffffff                               // 000000008090: 8652FF52 00FFFFFF
	s_cmp_lt_u32 s82, s66                                      // 000000008098: BF0A4252
	s_cselect_b32 s20, s36, s60                                // 00000000809C: 85143C24
	v_readlane_b32 s82, v3, 1                                  // 0000000080A0: D2890052 00010303
	s_and_b32 s82, s82, 0xffffff                               // 0000000080A8: 8652FF52 00FFFFFF
	s_cmp_lt_u32 s82, s66                                      // 0000000080B0: BF0A4252
	s_cselect_b32 s21, s36, s60                                // 0000000080B4: 85153C24
	s_mov_b64 exec, s[20:21]                                   // 0000000080B8: BEFE0114
	global_atomic_add_f32 v6, v84, s[8:9]                      // 0000000080BC: DD348000 00085406
	global_atomic_add_f32 v6, v88, s[8:9] offset:256           // 0000000080C4: DD348100 00085806
	s_mov_b64 exec, s[36:37]                                   // 0000000080CC: BEFE0124
	v_mov_b32_e32 v6, v65                                      // 0000000080D0: 7E0C0341
	s_mov_b64 s[60:61], 0                                      // 0000000080D4: BEBC0180
	v_readlane_b32 s82, v3, 2                                  // 0000000080D8: D2890052 00010503
	s_and_b32 s82, s82, 0xffffff                               // 0000000080E0: 8652FF52 00FFFFFF
	s_cmp_lt_u32 s82, s66                                      // 0000000080E8: BF0A4252
	s_cselect_b32 s20, s36, s60                                // 0000000080EC: 85143C24
	v_readlane_b32 s82, v3, 3                                  // 0000000080F0: D2890052 00010703
	s_and_b32 s82, s82, 0xffffff                               // 0000000080F8: 8652FF52 00FFFFFF
	s_cmp_lt_u32 s82, s66                                      // 000000008100: BF0A4252
	s_cselect_b32 s21, s36, s60                                // 000000008104: 85153C24
	s_mov_b64 exec, s[20:21]                                   // 000000008108: BEFE0114
	global_atomic_add_f32 v6, v85, s[8:9]                      // 00000000810C: DD348000 00085506
	global_atomic_add_f32 v6, v89, s[8:9] offset:256           // 000000008114: DD348100 00085906
	s_mov_b64 exec, s[36:37]                                   // 00000000811C: BEFE0124
	v_mov_b32_e32 v6, v66                                      // 000000008120: 7E0C0342
	s_mov_b64 s[60:61], 0                                      // 000000008124: BEBC0180
	v_readlane_b32 s82, v3, 4                                  // 000000008128: D2890052 00010903
	s_and_b32 s82, s82, 0xffffff                               // 000000008130: 8652FF52 00FFFFFF
	s_cmp_lt_u32 s82, s66                                      // 000000008138: BF0A4252
	s_cselect_b32 s20, s36, s60                                // 00000000813C: 85143C24
	v_readlane_b32 s82, v3, 5                                  // 000000008140: D2890052 00010B03
	s_and_b32 s82, s82, 0xffffff                               // 000000008148: 8652FF52 00FFFFFF
	s_cmp_lt_u32 s82, s66                                      // 000000008150: BF0A4252
	s_cselect_b32 s21, s36, s60                                // 000000008154: 85153C24
	s_mov_b64 exec, s[20:21]                                   // 000000008158: BEFE0114
	global_atomic_add_f32 v6, v92, s[8:9]                      // 00000000815C: DD348000 00085C06
	global_atomic_add_f32 v6, v96, s[8:9] offset:256           // 000000008164: DD348100 00086006
	s_mov_b64 exec, s[36:37]                                   // 00000000816C: BEFE0124
	v_mov_b32_e32 v6, v67                                      // 000000008170: 7E0C0343
	s_mov_b64 s[60:61], 0                                      // 000000008174: BEBC0180
	v_readlane_b32 s82, v3, 6                                  // 000000008178: D2890052 00010D03
	s_and_b32 s82, s82, 0xffffff                               // 000000008180: 8652FF52 00FFFFFF
	s_cmp_lt_u32 s82, s66                                      // 000000008188: BF0A4252
	s_cselect_b32 s20, s36, s60                                // 00000000818C: 85143C24
	v_readlane_b32 s82, v3, 7                                  // 000000008190: D2890052 00010F03
	s_and_b32 s82, s82, 0xffffff                               // 000000008198: 8652FF52 00FFFFFF
	s_cmp_lt_u32 s82, s66                                      // 0000000081A0: BF0A4252
	s_cselect_b32 s21, s36, s60                                // 0000000081A4: 85153C24
	s_mov_b64 exec, s[20:21]                                   // 0000000081A8: BEFE0114
	global_atomic_add_f32 v6, v93, s[8:9]                      // 0000000081AC: DD348000 00085D06
	global_atomic_add_f32 v6, v97, s[8:9] offset:256           // 0000000081B4: DD348100 00086106
	s_mov_b64 exec, s[36:37]                                   // 0000000081BC: BEFE0124
	v_mov_b32_e32 v6, v68                                      // 0000000081C0: 7E0C0344
	s_mov_b64 s[60:61], 0                                      // 0000000081C4: BEBC0180
	v_readlane_b32 s82, v3, 8                                  // 0000000081C8: D2890052 00011103
	s_and_b32 s82, s82, 0xffffff                               // 0000000081D0: 8652FF52 00FFFFFF
	s_cmp_lt_u32 s82, s66                                      // 0000000081D8: BF0A4252
	s_cselect_b32 s20, s36, s60                                // 0000000081DC: 85143C24
	v_readlane_b32 s82, v3, 9                                  // 0000000081E0: D2890052 00011303
	s_and_b32 s82, s82, 0xffffff                               // 0000000081E8: 8652FF52 00FFFFFF
	s_cmp_lt_u32 s82, s66                                      // 0000000081F0: BF0A4252
	s_cselect_b32 s21, s36, s60                                // 0000000081F4: 85153C24
	s_mov_b64 exec, s[20:21]                                   // 0000000081F8: BEFE0114
	global_atomic_add_f32 v6, v100, s[8:9]                     // 0000000081FC: DD348000 00086406
	global_atomic_add_f32 v6, v104, s[8:9] offset:256          // 000000008204: DD348100 00086806
	s_mov_b64 exec, s[36:37]                                   // 00000000820C: BEFE0124
	v_mov_b32_e32 v6, v69                                      // 000000008210: 7E0C0345
	s_mov_b64 s[60:61], 0                                      // 000000008214: BEBC0180
	v_readlane_b32 s82, v3, 10                                 // 000000008218: D2890052 00011503
	s_and_b32 s82, s82, 0xffffff                               // 000000008220: 8652FF52 00FFFFFF
	s_cmp_lt_u32 s82, s66                                      // 000000008228: BF0A4252
	s_cselect_b32 s20, s36, s60                                // 00000000822C: 85143C24
	v_readlane_b32 s82, v3, 11                                 // 000000008230: D2890052 00011703
	s_and_b32 s82, s82, 0xffffff                               // 000000008238: 8652FF52 00FFFFFF
	s_cmp_lt_u32 s82, s66                                      // 000000008240: BF0A4252
	s_cselect_b32 s21, s36, s60                                // 000000008244: 85153C24
	s_mov_b64 exec, s[20:21]                                   // 000000008248: BEFE0114
	global_atomic_add_f32 v6, v101, s[8:9]                     // 00000000824C: DD348000 00086506
	global_atomic_add_f32 v6, v105, s[8:9] offset:256          // 000000008254: DD348100 00086906
	s_mov_b64 exec, s[36:37]                                   // 00000000825C: BEFE0124
	v_mov_b32_e32 v6, v70                                      // 000000008260: 7E0C0346
	s_mov_b64 s[60:61], 0                                      // 000000008264: BEBC0180
	v_readlane_b32 s82, v3, 12                                 // 000000008268: D2890052 00011903
	s_and_b32 s82, s82, 0xffffff                               // 000000008270: 8652FF52 00FFFFFF
	s_cmp_lt_u32 s82, s66                                      // 000000008278: BF0A4252
	s_cselect_b32 s20, s36, s60                                // 00000000827C: 85143C24
	v_readlane_b32 s82, v3, 13                                 // 000000008280: D2890052 00011B03
	s_and_b32 s82, s82, 0xffffff                               // 000000008288: 8652FF52 00FFFFFF
	s_cmp_lt_u32 s82, s66                                      // 000000008290: BF0A4252
	s_cselect_b32 s21, s36, s60                                // 000000008294: 85153C24
	s_mov_b64 exec, s[20:21]                                   // 000000008298: BEFE0114
	global_atomic_add_f32 v6, v108, s[8:9]                     // 00000000829C: DD348000 00086C06
	global_atomic_add_f32 v6, v112, s[8:9] offset:256          // 0000000082A4: DD348100 00087006
	s_mov_b64 exec, s[36:37]                                   // 0000000082AC: BEFE0124
	v_mov_b32_e32 v6, v71                                      // 0000000082B0: 7E0C0347
	s_mov_b64 s[60:61], 0                                      // 0000000082B4: BEBC0180
	v_readlane_b32 s82, v3, 14                                 // 0000000082B8: D2890052 00011D03
	s_and_b32 s82, s82, 0xffffff                               // 0000000082C0: 8652FF52 00FFFFFF
	s_cmp_lt_u32 s82, s66                                      // 0000000082C8: BF0A4252
	s_cselect_b32 s20, s36, s60                                // 0000000082CC: 85143C24
	v_readlane_b32 s82, v3, 15                                 // 0000000082D0: D2890052 00011F03
	s_and_b32 s82, s82, 0xffffff                               // 0000000082D8: 8652FF52 00FFFFFF
	s_cmp_lt_u32 s82, s66                                      // 0000000082E0: BF0A4252
	s_cselect_b32 s21, s36, s60                                // 0000000082E4: 85153C24
	s_mov_b64 exec, s[20:21]                                   // 0000000082E8: BEFE0114
	global_atomic_add_f32 v6, v109, s[8:9]                     // 0000000082EC: DD348000 00086D06
	global_atomic_add_f32 v6, v113, s[8:9] offset:256          // 0000000082F4: DD348100 00087106
	s_mov_b64 exec, s[36:37]                                   // 0000000082FC: BEFE0124
	v_mov_b32_e32 v6, v72                                      // 000000008300: 7E0C0348
	s_mov_b64 s[60:61], 0                                      // 000000008304: BEBC0180
	v_readlane_b32 s82, v3, 16                                 // 000000008308: D2890052 00012103
	s_and_b32 s82, s82, 0xffffff                               // 000000008310: 8652FF52 00FFFFFF
	s_cmp_lt_u32 s82, s66                                      // 000000008318: BF0A4252
	s_cselect_b32 s20, s36, s60                                // 00000000831C: 85143C24
	v_readlane_b32 s82, v3, 17                                 // 000000008320: D2890052 00012303
	s_and_b32 s82, s82, 0xffffff                               // 000000008328: 8652FF52 00FFFFFF
	s_cmp_lt_u32 s82, s66                                      // 000000008330: BF0A4252
	s_cselect_b32 s21, s36, s60                                // 000000008334: 85153C24
	s_mov_b64 exec, s[20:21]                                   // 000000008338: BEFE0114
	global_atomic_add_f32 v6, v116, s[8:9]                     // 00000000833C: DD348000 00087406
	global_atomic_add_f32 v6, v120, s[8:9] offset:256          // 000000008344: DD348100 00087806
	s_mov_b64 exec, s[36:37]                                   // 00000000834C: BEFE0124
	v_mov_b32_e32 v6, v73                                      // 000000008350: 7E0C0349
	s_mov_b64 s[60:61], 0                                      // 000000008354: BEBC0180
	v_readlane_b32 s82, v3, 18                                 // 000000008358: D2890052 00012503
	s_and_b32 s82, s82, 0xffffff                               // 000000008360: 8652FF52 00FFFFFF
	s_cmp_lt_u32 s82, s66                                      // 000000008368: BF0A4252
	s_cselect_b32 s20, s36, s60                                // 00000000836C: 85143C24
	v_readlane_b32 s82, v3, 19                                 // 000000008370: D2890052 00012703
	s_and_b32 s82, s82, 0xffffff                               // 000000008378: 8652FF52 00FFFFFF
	s_cmp_lt_u32 s82, s66                                      // 000000008380: BF0A4252
	s_cselect_b32 s21, s36, s60                                // 000000008384: 85153C24
	s_mov_b64 exec, s[20:21]                                   // 000000008388: BEFE0114
	global_atomic_add_f32 v6, v117, s[8:9]                     // 00000000838C: DD348000 00087506
	global_atomic_add_f32 v6, v121, s[8:9] offset:256          // 000000008394: DD348100 00087906
	s_mov_b64 exec, s[36:37]                                   // 00000000839C: BEFE0124
	v_mov_b32_e32 v6, v74                                      // 0000000083A0: 7E0C034A
	s_mov_b64 s[60:61], 0                                      // 0000000083A4: BEBC0180
	v_readlane_b32 s82, v3, 20                                 // 0000000083A8: D2890052 00012903
	s_and_b32 s82, s82, 0xffffff                               // 0000000083B0: 8652FF52 00FFFFFF
	s_cmp_lt_u32 s82, s66                                      // 0000000083B8: BF0A4252
	s_cselect_b32 s20, s36, s60                                // 0000000083BC: 85143C24
	v_readlane_b32 s82, v3, 21                                 // 0000000083C0: D2890052 00012B03
	s_and_b32 s82, s82, 0xffffff                               // 0000000083C8: 8652FF52 00FFFFFF
	s_cmp_lt_u32 s82, s66                                      // 0000000083D0: BF0A4252
	s_cselect_b32 s21, s36, s60                                // 0000000083D4: 85153C24
	s_mov_b64 exec, s[20:21]                                   // 0000000083D8: BEFE0114
	global_atomic_add_f32 v6, v124, s[8:9]                     // 0000000083DC: DD348000 00087C06
	global_atomic_add_f32 v6, v128, s[8:9] offset:256          // 0000000083E4: DD348100 00088006
	s_mov_b64 exec, s[36:37]                                   // 0000000083EC: BEFE0124
	v_mov_b32_e32 v6, v75                                      // 0000000083F0: 7E0C034B
	s_mov_b64 s[60:61], 0                                      // 0000000083F4: BEBC0180
	v_readlane_b32 s82, v3, 22                                 // 0000000083F8: D2890052 00012D03
	s_and_b32 s82, s82, 0xffffff                               // 000000008400: 8652FF52 00FFFFFF
	s_cmp_lt_u32 s82, s66                                      // 000000008408: BF0A4252
	s_cselect_b32 s20, s36, s60                                // 00000000840C: 85143C24
	v_readlane_b32 s82, v3, 23                                 // 000000008410: D2890052 00012F03
	s_and_b32 s82, s82, 0xffffff                               // 000000008418: 8652FF52 00FFFFFF
	s_cmp_lt_u32 s82, s66                                      // 000000008420: BF0A4252
	s_cselect_b32 s21, s36, s60                                // 000000008424: 85153C24
	s_mov_b64 exec, s[20:21]                                   // 000000008428: BEFE0114
	global_atomic_add_f32 v6, v125, s[8:9]                     // 00000000842C: DD348000 00087D06
	global_atomic_add_f32 v6, v129, s[8:9] offset:256          // 000000008434: DD348100 00088106
	s_mov_b64 exec, s[36:37]                                   // 00000000843C: BEFE0124
	v_mov_b32_e32 v6, v76                                      // 000000008440: 7E0C034C
	s_mov_b64 s[60:61], 0                                      // 000000008444: BEBC0180
	v_readlane_b32 s82, v3, 24                                 // 000000008448: D2890052 00013103
	s_and_b32 s82, s82, 0xffffff                               // 000000008450: 8652FF52 00FFFFFF
	s_cmp_lt_u32 s82, s66                                      // 000000008458: BF0A4252
	s_cselect_b32 s20, s36, s60                                // 00000000845C: 85143C24
	v_readlane_b32 s82, v3, 25                                 // 000000008460: D2890052 00013303
	s_and_b32 s82, s82, 0xffffff                               // 000000008468: 8652FF52 00FFFFFF
	s_cmp_lt_u32 s82, s66                                      // 000000008470: BF0A4252
	s_cselect_b32 s21, s36, s60                                // 000000008474: 85153C24
	s_mov_b64 exec, s[20:21]                                   // 000000008478: BEFE0114
	global_atomic_add_f32 v6, v132, s[8:9]                     // 00000000847C: DD348000 00088406
	global_atomic_add_f32 v6, v136, s[8:9] offset:256          // 000000008484: DD348100 00088806
	s_mov_b64 exec, s[36:37]                                   // 00000000848C: BEFE0124
	v_mov_b32_e32 v6, v77                                      // 000000008490: 7E0C034D
	s_mov_b64 s[60:61], 0                                      // 000000008494: BEBC0180
	v_readlane_b32 s82, v3, 26                                 // 000000008498: D2890052 00013503
	s_and_b32 s82, s82, 0xffffff                               // 0000000084A0: 8652FF52 00FFFFFF
	s_cmp_lt_u32 s82, s66                                      // 0000000084A8: BF0A4252
	s_cselect_b32 s20, s36, s60                                // 0000000084AC: 85143C24
	v_readlane_b32 s82, v3, 27                                 // 0000000084B0: D2890052 00013703
	s_and_b32 s82, s82, 0xffffff                               // 0000000084B8: 8652FF52 00FFFFFF
	s_cmp_lt_u32 s82, s66                                      // 0000000084C0: BF0A4252
	s_cselect_b32 s21, s36, s60                                // 0000000084C4: 85153C24
	s_mov_b64 exec, s[20:21]                                   // 0000000084C8: BEFE0114
	global_atomic_add_f32 v6, v133, s[8:9]                     // 0000000084CC: DD348000 00088506
	global_atomic_add_f32 v6, v137, s[8:9] offset:256          // 0000000084D4: DD348100 00088906
	s_mov_b64 exec, s[36:37]                                   // 0000000084DC: BEFE0124
	v_mov_b32_e32 v6, v78                                      // 0000000084E0: 7E0C034E
	s_mov_b64 s[60:61], 0                                      // 0000000084E4: BEBC0180
	v_readlane_b32 s82, v3, 28                                 // 0000000084E8: D2890052 00013903
	s_and_b32 s82, s82, 0xffffff                               // 0000000084F0: 8652FF52 00FFFFFF
	s_cmp_lt_u32 s82, s66                                      // 0000000084F8: BF0A4252
	s_cselect_b32 s20, s36, s60                                // 0000000084FC: 85143C24
	v_readlane_b32 s82, v3, 29                                 // 000000008500: D2890052 00013B03
	s_and_b32 s82, s82, 0xffffff                               // 000000008508: 8652FF52 00FFFFFF
	s_cmp_lt_u32 s82, s66                                      // 000000008510: BF0A4252
	s_cselect_b32 s21, s36, s60                                // 000000008514: 85153C24
	s_mov_b64 exec, s[20:21]                                   // 000000008518: BEFE0114
	global_atomic_add_f32 v6, v140, s[8:9]                     // 00000000851C: DD348000 00088C06
	global_atomic_add_f32 v6, v144, s[8:9] offset:256          // 000000008524: DD348100 00089006
	s_mov_b64 exec, s[36:37]                                   // 00000000852C: BEFE0124
	v_mov_b32_e32 v6, v79                                      // 000000008530: 7E0C034F
	s_mov_b64 s[60:61], 0                                      // 000000008534: BEBC0180
	v_readlane_b32 s82, v3, 30                                 // 000000008538: D2890052 00013D03
	s_and_b32 s82, s82, 0xffffff                               // 000000008540: 8652FF52 00FFFFFF
	s_cmp_lt_u32 s82, s66                                      // 000000008548: BF0A4252
	s_cselect_b32 s20, s36, s60                                // 00000000854C: 85143C24
	v_readlane_b32 s82, v3, 31                                 // 000000008550: D2890052 00013F03
	s_and_b32 s82, s82, 0xffffff                               // 000000008558: 8652FF52 00FFFFFF
	s_cmp_lt_u32 s82, s66                                      // 000000008560: BF0A4252
	s_cselect_b32 s21, s36, s60                                // 000000008564: 85153C24
	s_mov_b64 exec, s[20:21]                                   // 000000008568: BEFE0114
	global_atomic_add_f32 v6, v141, s[8:9]                     // 00000000856C: DD348000 00088D06
	global_atomic_add_f32 v6, v145, s[8:9] offset:256          // 000000008574: DD348100 00089106
	s_mov_b64 exec, s[36:37]                                   // 00000000857C: BEFE0124
	v_mov_b32_e32 v6, v80                                      // 000000008580: 7E0C0350
	s_mov_b64 s[60:61], 0                                      // 000000008584: BEBC0180
	v_readlane_b32 s82, v3, 32                                 // 000000008588: D2890052 00014103
	s_and_b32 s82, s82, 0xffffff                               // 000000008590: 8652FF52 00FFFFFF
	s_cmp_lt_u32 s82, s66                                      // 000000008598: BF0A4252
	s_cselect_b32 s20, s36, s60                                // 00000000859C: 85143C24
	v_readlane_b32 s82, v3, 33                                 // 0000000085A0: D2890052 00014303
	s_and_b32 s82, s82, 0xffffff                               // 0000000085A8: 8652FF52 00FFFFFF
	s_cmp_lt_u32 s82, s66                                      // 0000000085B0: BF0A4252
	s_cselect_b32 s21, s36, s60                                // 0000000085B4: 85153C24
	s_mov_b64 exec, s[20:21]                                   // 0000000085B8: BEFE0114
	global_atomic_add_f32 v6, v148, s[8:9]                     // 0000000085BC: DD348000 00089406
	global_atomic_add_f32 v6, v152, s[8:9] offset:256          // 0000000085C4: DD348100 00089806
	s_mov_b64 exec, s[36:37]                                   // 0000000085CC: BEFE0124
	v_mov_b32_e32 v6, v81                                      // 0000000085D0: 7E0C0351
	s_mov_b64 s[60:61], 0                                      // 0000000085D4: BEBC0180
	v_readlane_b32 s82, v3, 34                                 // 0000000085D8: D2890052 00014503
	s_and_b32 s82, s82, 0xffffff                               // 0000000085E0: 8652FF52 00FFFFFF
	s_cmp_lt_u32 s82, s66                                      // 0000000085E8: BF0A4252
	s_cselect_b32 s20, s36, s60                                // 0000000085EC: 85143C24
	v_readlane_b32 s82, v3, 35                                 // 0000000085F0: D2890052 00014703
	s_and_b32 s82, s82, 0xffffff                               // 0000000085F8: 8652FF52 00FFFFFF
	s_cmp_lt_u32 s82, s66                                      // 000000008600: BF0A4252
	s_cselect_b32 s21, s36, s60                                // 000000008604: 85153C24
	s_mov_b64 exec, s[20:21]                                   // 000000008608: BEFE0114
	global_atomic_add_f32 v6, v149, s[8:9]                     // 00000000860C: DD348000 00089506
	global_atomic_add_f32 v6, v153, s[8:9] offset:256          // 000000008614: DD348100 00089906
	s_mov_b64 exec, s[36:37]                                   // 00000000861C: BEFE0124
	ds_write_b64 v20, v[86:87]                                 // 000000008620: D89A0000 00005614
	ds_write_b64 v20, v[90:91] offset:4352                     // 000000008628: D89A1100 00005A14
	ds_write_b64 v20, v[94:95] offset:8704                     // 000000008630: D89A2200 00005E14
	ds_write_b64 v20, v[98:99] offset:13056                    // 000000008638: D89A3300 00006214
	ds_write_b64 v20, v[102:103] offset:17408                  // 000000008640: D89A4400 00006614
	ds_write_b64 v20, v[106:107] offset:21760                  // 000000008648: D89A5500 00006A14
	ds_write_b64 v20, v[110:111] offset:26112                  // 000000008650: D89A6600 00006E14
	ds_write_b64 v20, v[114:115] offset:30464                  // 000000008658: D89A7700 00007214
	ds_write_b64 v20, v[118:119] offset:34816                  // 000000008660: D89A8800 00007614
	ds_write_b64 v20, v[122:123] offset:2176                   // 000000008668: D89A0880 00007A14
	ds_write_b64 v20, v[126:127] offset:6528                   // 000000008670: D89A1980 00007E14
	ds_write_b64 v20, v[130:131] offset:10880                  // 000000008678: D89A2A80 00008214
	ds_write_b64 v20, v[134:135] offset:15232                  // 000000008680: D89A3B80 00008614
	ds_write_b64 v20, v[138:139] offset:19584                  // 000000008688: D89A4C80 00008A14
	ds_write_b64 v20, v[142:143] offset:23936                  // 000000008690: D89A5D80 00008E14
	ds_write_b64 v20, v[146:147] offset:28288                  // 000000008698: D89A6E80 00009214
	ds_write_b64 v20, v[150:151] offset:32640                  // 0000000086A0: D89A7F80 00009614
	ds_write_b64 v20, v[154:155] offset:36992                  // 0000000086A8: D89A9080 00009A14
	s_waitcnt lgkmcnt(0)                                       // 0000000086B0: BF8CC07F
	s_barrier                                                  // 0000000086B4: BF8A0000
	ds_read_b32 v86, v21                                       // 0000000086B8: D86C0000 56000015
	ds_read_b32 v87, v21 offset:64                             // 0000000086C0: D86C0040 57000015
	ds_read_b32 v90, v21 offset:2176                           // 0000000086C8: D86C0880 5A000015
	ds_read_b32 v91, v21 offset:2240                           // 0000000086D0: D86C08C0 5B000015
	ds_read_b32 v94, v21 offset:4352                           // 0000000086D8: D86C1100 5E000015
	ds_read_b32 v95, v21 offset:4416                           // 0000000086E0: D86C1140 5F000015
	ds_read_b32 v98, v21 offset:6528                           // 0000000086E8: D86C1980 62000015
	ds_read_b32 v99, v21 offset:6592                           // 0000000086F0: D86C19C0 63000015
	ds_read_b32 v102, v21 offset:8704                          // 0000000086F8: D86C2200 66000015
	ds_read_b32 v103, v21 offset:8768                          // 000000008700: D86C2240 67000015
	ds_read_b32 v106, v21 offset:10880                         // 000000008708: D86C2A80 6A000015
	ds_read_b32 v107, v21 offset:10944                         // 000000008710: D86C2AC0 6B000015
	ds_read_b32 v110, v21 offset:13056                         // 000000008718: D86C3300 6E000015
	ds_read_b32 v111, v21 offset:13120                         // 000000008720: D86C3340 6F000015
	ds_read_b32 v114, v21 offset:15232                         // 000000008728: D86C3B80 72000015
	ds_read_b32 v115, v21 offset:15296                         // 000000008730: D86C3BC0 73000015
	ds_read_b32 v118, v21 offset:17408                         // 000000008738: D86C4400 76000015
	ds_read_b32 v119, v21 offset:17472                         // 000000008740: D86C4440 77000015
	ds_read_b32 v122, v21 offset:19584                         // 000000008748: D86C4C80 7A000015
	ds_read_b32 v123, v21 offset:19648                         // 000000008750: D86C4CC0 7B000015
	ds_read_b32 v126, v21 offset:21760                         // 000000008758: D86C5500 7E000015
	ds_read_b32 v127, v21 offset:21824                         // 000000008760: D86C5540 7F000015
	ds_read_b32 v130, v21 offset:23936                         // 000000008768: D86C5D80 82000015
	ds_read_b32 v131, v21 offset:24000                         // 000000008770: D86C5DC0 83000015
	ds_read_b32 v134, v21 offset:26112                         // 000000008778: D86C6600 86000015
	ds_read_b32 v135, v21 offset:26176                         // 000000008780: D86C6640 87000015
	ds_read_b32 v138, v21 offset:28288                         // 000000008788: D86C6E80 8A000015
	ds_read_b32 v139, v21 offset:28352                         // 000000008790: D86C6EC0 8B000015
	ds_read_b32 v142, v21 offset:30464                         // 000000008798: D86C7700 8E000015
	ds_read_b32 v143, v21 offset:30528                         // 0000000087A0: D86C7740 8F000015
	ds_read_b32 v146, v21 offset:32640                         // 0000000087A8: D86C7F80 92000015
	ds_read_b32 v147, v21 offset:32704                         // 0000000087B0: D86C7FC0 93000015
	ds_read_b32 v150, v21 offset:34816                         // 0000000087B8: D86C8800 96000015
	ds_read_b32 v151, v21 offset:34880                         // 0000000087C0: D86C8840 97000015
	ds_read_b32 v154, v21 offset:36992                         // 0000000087C8: D86C9080 9A000015
	ds_read_b32 v155, v21 offset:37056                         // 0000000087D0: D86C90C0 9B000015
	s_waitcnt lgkmcnt(0)                                       // 0000000087D8: BF8CC07F
	v_mov_b32_e32 v7, 0                                        // 0000000087DC: 7E0E0280
	s_mov_b64 exec, s[36:37]                                   // 0000000087E0: BEFE0124
	v_mov_b32_e32 v6, v64                                      // 0000000087E4: 7E0C0340
	s_mov_b64 s[60:61], 0                                      // 0000000087E8: BEBC0180
	v_readlane_b32 s82, v3, 0                                  // 0000000087EC: D2890052 00010103
	s_and_b32 s82, s82, 0xffffff                               // 0000000087F4: 8652FF52 00FFFFFF
	s_cmp_lt_u32 s82, s66                                      // 0000000087FC: BF0A4252
	s_cselect_b32 s20, s36, s60                                // 000000008800: 85143C24
	v_readlane_b32 s82, v3, 1                                  // 000000008804: D2890052 00010303
	s_and_b32 s82, s82, 0xffffff                               // 00000000880C: 8652FF52 00FFFFFF
	s_cmp_lt_u32 s82, s66                                      // 000000008814: BF0A4252
	s_cselect_b32 s21, s36, s60                                // 000000008818: 85153C24
	s_mov_b64 exec, s[20:21]                                   // 00000000881C: BEFE0114
	global_atomic_add_f32 v6, v86, s[8:9] offset:8             // 000000008820: DD348008 00085606
	global_atomic_add_f32 v6, v90, s[8:9] offset:264           // 000000008828: DD348108 00085A06
	s_mov_b64 exec, s[36:37]                                   // 000000008830: BEFE0124
	v_mov_b32_e32 v6, v65                                      // 000000008834: 7E0C0341
	s_mov_b64 s[60:61], 0                                      // 000000008838: BEBC0180
	v_readlane_b32 s82, v3, 2                                  // 00000000883C: D2890052 00010503
	s_and_b32 s82, s82, 0xffffff                               // 000000008844: 8652FF52 00FFFFFF
	s_cmp_lt_u32 s82, s66                                      // 00000000884C: BF0A4252
	s_cselect_b32 s20, s36, s60                                // 000000008850: 85143C24
	v_readlane_b32 s82, v3, 3                                  // 000000008854: D2890052 00010703
	s_and_b32 s82, s82, 0xffffff                               // 00000000885C: 8652FF52 00FFFFFF
	s_cmp_lt_u32 s82, s66                                      // 000000008864: BF0A4252
	s_cselect_b32 s21, s36, s60                                // 000000008868: 85153C24
	s_mov_b64 exec, s[20:21]                                   // 00000000886C: BEFE0114
	global_atomic_add_f32 v6, v87, s[8:9] offset:8             // 000000008870: DD348008 00085706
	global_atomic_add_f32 v6, v91, s[8:9] offset:264           // 000000008878: DD348108 00085B06
	s_mov_b64 exec, s[36:37]                                   // 000000008880: BEFE0124
	v_mov_b32_e32 v6, v66                                      // 000000008884: 7E0C0342
	s_mov_b64 s[60:61], 0                                      // 000000008888: BEBC0180
	v_readlane_b32 s82, v3, 4                                  // 00000000888C: D2890052 00010903
	s_and_b32 s82, s82, 0xffffff                               // 000000008894: 8652FF52 00FFFFFF
	s_cmp_lt_u32 s82, s66                                      // 00000000889C: BF0A4252
	s_cselect_b32 s20, s36, s60                                // 0000000088A0: 85143C24
	v_readlane_b32 s82, v3, 5                                  // 0000000088A4: D2890052 00010B03
	s_and_b32 s82, s82, 0xffffff                               // 0000000088AC: 8652FF52 00FFFFFF
	s_cmp_lt_u32 s82, s66                                      // 0000000088B4: BF0A4252
	s_cselect_b32 s21, s36, s60                                // 0000000088B8: 85153C24
	s_mov_b64 exec, s[20:21]                                   // 0000000088BC: BEFE0114
	global_atomic_add_f32 v6, v94, s[8:9] offset:8             // 0000000088C0: DD348008 00085E06
	global_atomic_add_f32 v6, v98, s[8:9] offset:264           // 0000000088C8: DD348108 00086206
	s_mov_b64 exec, s[36:37]                                   // 0000000088D0: BEFE0124
	v_mov_b32_e32 v6, v67                                      // 0000000088D4: 7E0C0343
	s_mov_b64 s[60:61], 0                                      // 0000000088D8: BEBC0180
	v_readlane_b32 s82, v3, 6                                  // 0000000088DC: D2890052 00010D03
	s_and_b32 s82, s82, 0xffffff                               // 0000000088E4: 8652FF52 00FFFFFF
	s_cmp_lt_u32 s82, s66                                      // 0000000088EC: BF0A4252
	s_cselect_b32 s20, s36, s60                                // 0000000088F0: 85143C24
	v_readlane_b32 s82, v3, 7                                  // 0000000088F4: D2890052 00010F03
	s_and_b32 s82, s82, 0xffffff                               // 0000000088FC: 8652FF52 00FFFFFF
	s_cmp_lt_u32 s82, s66                                      // 000000008904: BF0A4252
	s_cselect_b32 s21, s36, s60                                // 000000008908: 85153C24
	s_mov_b64 exec, s[20:21]                                   // 00000000890C: BEFE0114
	global_atomic_add_f32 v6, v95, s[8:9] offset:8             // 000000008910: DD348008 00085F06
	global_atomic_add_f32 v6, v99, s[8:9] offset:264           // 000000008918: DD348108 00086306
	s_mov_b64 exec, s[36:37]                                   // 000000008920: BEFE0124
	v_mov_b32_e32 v6, v68                                      // 000000008924: 7E0C0344
	s_mov_b64 s[60:61], 0                                      // 000000008928: BEBC0180
	v_readlane_b32 s82, v3, 8                                  // 00000000892C: D2890052 00011103
	s_and_b32 s82, s82, 0xffffff                               // 000000008934: 8652FF52 00FFFFFF
	s_cmp_lt_u32 s82, s66                                      // 00000000893C: BF0A4252
	s_cselect_b32 s20, s36, s60                                // 000000008940: 85143C24
	v_readlane_b32 s82, v3, 9                                  // 000000008944: D2890052 00011303
	s_and_b32 s82, s82, 0xffffff                               // 00000000894C: 8652FF52 00FFFFFF
	s_cmp_lt_u32 s82, s66                                      // 000000008954: BF0A4252
	s_cselect_b32 s21, s36, s60                                // 000000008958: 85153C24
	s_mov_b64 exec, s[20:21]                                   // 00000000895C: BEFE0114
	global_atomic_add_f32 v6, v102, s[8:9] offset:8            // 000000008960: DD348008 00086606
	global_atomic_add_f32 v6, v106, s[8:9] offset:264          // 000000008968: DD348108 00086A06
	s_mov_b64 exec, s[36:37]                                   // 000000008970: BEFE0124
	v_mov_b32_e32 v6, v69                                      // 000000008974: 7E0C0345
	s_mov_b64 s[60:61], 0                                      // 000000008978: BEBC0180
	v_readlane_b32 s82, v3, 10                                 // 00000000897C: D2890052 00011503
	s_and_b32 s82, s82, 0xffffff                               // 000000008984: 8652FF52 00FFFFFF
	s_cmp_lt_u32 s82, s66                                      // 00000000898C: BF0A4252
	s_cselect_b32 s20, s36, s60                                // 000000008990: 85143C24
	v_readlane_b32 s82, v3, 11                                 // 000000008994: D2890052 00011703
	s_and_b32 s82, s82, 0xffffff                               // 00000000899C: 8652FF52 00FFFFFF
	s_cmp_lt_u32 s82, s66                                      // 0000000089A4: BF0A4252
	s_cselect_b32 s21, s36, s60                                // 0000000089A8: 85153C24
	s_mov_b64 exec, s[20:21]                                   // 0000000089AC: BEFE0114
	global_atomic_add_f32 v6, v103, s[8:9] offset:8            // 0000000089B0: DD348008 00086706
	global_atomic_add_f32 v6, v107, s[8:9] offset:264          // 0000000089B8: DD348108 00086B06
	s_mov_b64 exec, s[36:37]                                   // 0000000089C0: BEFE0124
	v_mov_b32_e32 v6, v70                                      // 0000000089C4: 7E0C0346
	s_mov_b64 s[60:61], 0                                      // 0000000089C8: BEBC0180
	v_readlane_b32 s82, v3, 12                                 // 0000000089CC: D2890052 00011903
	s_and_b32 s82, s82, 0xffffff                               // 0000000089D4: 8652FF52 00FFFFFF
	s_cmp_lt_u32 s82, s66                                      // 0000000089DC: BF0A4252
	s_cselect_b32 s20, s36, s60                                // 0000000089E0: 85143C24
	v_readlane_b32 s82, v3, 13                                 // 0000000089E4: D2890052 00011B03
	s_and_b32 s82, s82, 0xffffff                               // 0000000089EC: 8652FF52 00FFFFFF
	s_cmp_lt_u32 s82, s66                                      // 0000000089F4: BF0A4252
	s_cselect_b32 s21, s36, s60                                // 0000000089F8: 85153C24
	s_mov_b64 exec, s[20:21]                                   // 0000000089FC: BEFE0114
	global_atomic_add_f32 v6, v110, s[8:9] offset:8            // 000000008A00: DD348008 00086E06
	global_atomic_add_f32 v6, v114, s[8:9] offset:264          // 000000008A08: DD348108 00087206
	s_mov_b64 exec, s[36:37]                                   // 000000008A10: BEFE0124
	v_mov_b32_e32 v6, v71                                      // 000000008A14: 7E0C0347
	s_mov_b64 s[60:61], 0                                      // 000000008A18: BEBC0180
	v_readlane_b32 s82, v3, 14                                 // 000000008A1C: D2890052 00011D03
	s_and_b32 s82, s82, 0xffffff                               // 000000008A24: 8652FF52 00FFFFFF
	s_cmp_lt_u32 s82, s66                                      // 000000008A2C: BF0A4252
	s_cselect_b32 s20, s36, s60                                // 000000008A30: 85143C24
	v_readlane_b32 s82, v3, 15                                 // 000000008A34: D2890052 00011F03
	s_and_b32 s82, s82, 0xffffff                               // 000000008A3C: 8652FF52 00FFFFFF
	s_cmp_lt_u32 s82, s66                                      // 000000008A44: BF0A4252
	s_cselect_b32 s21, s36, s60                                // 000000008A48: 85153C24
	s_mov_b64 exec, s[20:21]                                   // 000000008A4C: BEFE0114
	global_atomic_add_f32 v6, v111, s[8:9] offset:8            // 000000008A50: DD348008 00086F06
	global_atomic_add_f32 v6, v115, s[8:9] offset:264          // 000000008A58: DD348108 00087306
	s_mov_b64 exec, s[36:37]                                   // 000000008A60: BEFE0124
	v_mov_b32_e32 v6, v72                                      // 000000008A64: 7E0C0348
	s_mov_b64 s[60:61], 0                                      // 000000008A68: BEBC0180
	v_readlane_b32 s82, v3, 16                                 // 000000008A6C: D2890052 00012103
	s_and_b32 s82, s82, 0xffffff                               // 000000008A74: 8652FF52 00FFFFFF
	s_cmp_lt_u32 s82, s66                                      // 000000008A7C: BF0A4252
	s_cselect_b32 s20, s36, s60                                // 000000008A80: 85143C24
	v_readlane_b32 s82, v3, 17                                 // 000000008A84: D2890052 00012303
	s_and_b32 s82, s82, 0xffffff                               // 000000008A8C: 8652FF52 00FFFFFF
	s_cmp_lt_u32 s82, s66                                      // 000000008A94: BF0A4252
	s_cselect_b32 s21, s36, s60                                // 000000008A98: 85153C24
	s_mov_b64 exec, s[20:21]                                   // 000000008A9C: BEFE0114
	global_atomic_add_f32 v6, v118, s[8:9] offset:8            // 000000008AA0: DD348008 00087606
	global_atomic_add_f32 v6, v122, s[8:9] offset:264          // 000000008AA8: DD348108 00087A06
	s_mov_b64 exec, s[36:37]                                   // 000000008AB0: BEFE0124
	v_mov_b32_e32 v6, v73                                      // 000000008AB4: 7E0C0349
	s_mov_b64 s[60:61], 0                                      // 000000008AB8: BEBC0180
	v_readlane_b32 s82, v3, 18                                 // 000000008ABC: D2890052 00012503
	s_and_b32 s82, s82, 0xffffff                               // 000000008AC4: 8652FF52 00FFFFFF
	s_cmp_lt_u32 s82, s66                                      // 000000008ACC: BF0A4252
	s_cselect_b32 s20, s36, s60                                // 000000008AD0: 85143C24
	v_readlane_b32 s82, v3, 19                                 // 000000008AD4: D2890052 00012703
	s_and_b32 s82, s82, 0xffffff                               // 000000008ADC: 8652FF52 00FFFFFF
	s_cmp_lt_u32 s82, s66                                      // 000000008AE4: BF0A4252
	s_cselect_b32 s21, s36, s60                                // 000000008AE8: 85153C24
	s_mov_b64 exec, s[20:21]                                   // 000000008AEC: BEFE0114
	global_atomic_add_f32 v6, v119, s[8:9] offset:8            // 000000008AF0: DD348008 00087706
	global_atomic_add_f32 v6, v123, s[8:9] offset:264          // 000000008AF8: DD348108 00087B06
	s_mov_b64 exec, s[36:37]                                   // 000000008B00: BEFE0124
	v_mov_b32_e32 v6, v74                                      // 000000008B04: 7E0C034A
	s_mov_b64 s[60:61], 0                                      // 000000008B08: BEBC0180
	v_readlane_b32 s82, v3, 20                                 // 000000008B0C: D2890052 00012903
	s_and_b32 s82, s82, 0xffffff                               // 000000008B14: 8652FF52 00FFFFFF
	s_cmp_lt_u32 s82, s66                                      // 000000008B1C: BF0A4252
	s_cselect_b32 s20, s36, s60                                // 000000008B20: 85143C24
	v_readlane_b32 s82, v3, 21                                 // 000000008B24: D2890052 00012B03
	s_and_b32 s82, s82, 0xffffff                               // 000000008B2C: 8652FF52 00FFFFFF
	s_cmp_lt_u32 s82, s66                                      // 000000008B34: BF0A4252
	s_cselect_b32 s21, s36, s60                                // 000000008B38: 85153C24
	s_mov_b64 exec, s[20:21]                                   // 000000008B3C: BEFE0114
	global_atomic_add_f32 v6, v126, s[8:9] offset:8            // 000000008B40: DD348008 00087E06
	global_atomic_add_f32 v6, v130, s[8:9] offset:264          // 000000008B48: DD348108 00088206
	s_mov_b64 exec, s[36:37]                                   // 000000008B50: BEFE0124
	v_mov_b32_e32 v6, v75                                      // 000000008B54: 7E0C034B
	s_mov_b64 s[60:61], 0                                      // 000000008B58: BEBC0180
	v_readlane_b32 s82, v3, 22                                 // 000000008B5C: D2890052 00012D03
	s_and_b32 s82, s82, 0xffffff                               // 000000008B64: 8652FF52 00FFFFFF
	s_cmp_lt_u32 s82, s66                                      // 000000008B6C: BF0A4252
	s_cselect_b32 s20, s36, s60                                // 000000008B70: 85143C24
	v_readlane_b32 s82, v3, 23                                 // 000000008B74: D2890052 00012F03
	s_and_b32 s82, s82, 0xffffff                               // 000000008B7C: 8652FF52 00FFFFFF
	s_cmp_lt_u32 s82, s66                                      // 000000008B84: BF0A4252
	s_cselect_b32 s21, s36, s60                                // 000000008B88: 85153C24
	s_mov_b64 exec, s[20:21]                                   // 000000008B8C: BEFE0114
	global_atomic_add_f32 v6, v127, s[8:9] offset:8            // 000000008B90: DD348008 00087F06
	global_atomic_add_f32 v6, v131, s[8:9] offset:264          // 000000008B98: DD348108 00088306
	s_mov_b64 exec, s[36:37]                                   // 000000008BA0: BEFE0124
	v_mov_b32_e32 v6, v76                                      // 000000008BA4: 7E0C034C
	s_mov_b64 s[60:61], 0                                      // 000000008BA8: BEBC0180
	v_readlane_b32 s82, v3, 24                                 // 000000008BAC: D2890052 00013103
	s_and_b32 s82, s82, 0xffffff                               // 000000008BB4: 8652FF52 00FFFFFF
	s_cmp_lt_u32 s82, s66                                      // 000000008BBC: BF0A4252
	s_cselect_b32 s20, s36, s60                                // 000000008BC0: 85143C24
	v_readlane_b32 s82, v3, 25                                 // 000000008BC4: D2890052 00013303
	s_and_b32 s82, s82, 0xffffff                               // 000000008BCC: 8652FF52 00FFFFFF
	s_cmp_lt_u32 s82, s66                                      // 000000008BD4: BF0A4252
	s_cselect_b32 s21, s36, s60                                // 000000008BD8: 85153C24
	s_mov_b64 exec, s[20:21]                                   // 000000008BDC: BEFE0114
	global_atomic_add_f32 v6, v134, s[8:9] offset:8            // 000000008BE0: DD348008 00088606
	global_atomic_add_f32 v6, v138, s[8:9] offset:264          // 000000008BE8: DD348108 00088A06
	s_mov_b64 exec, s[36:37]                                   // 000000008BF0: BEFE0124
	v_mov_b32_e32 v6, v77                                      // 000000008BF4: 7E0C034D
	s_mov_b64 s[60:61], 0                                      // 000000008BF8: BEBC0180
	v_readlane_b32 s82, v3, 26                                 // 000000008BFC: D2890052 00013503
	s_and_b32 s82, s82, 0xffffff                               // 000000008C04: 8652FF52 00FFFFFF
	s_cmp_lt_u32 s82, s66                                      // 000000008C0C: BF0A4252
	s_cselect_b32 s20, s36, s60                                // 000000008C10: 85143C24
	v_readlane_b32 s82, v3, 27                                 // 000000008C14: D2890052 00013703
	s_and_b32 s82, s82, 0xffffff                               // 000000008C1C: 8652FF52 00FFFFFF
	s_cmp_lt_u32 s82, s66                                      // 000000008C24: BF0A4252
	s_cselect_b32 s21, s36, s60                                // 000000008C28: 85153C24
	s_mov_b64 exec, s[20:21]                                   // 000000008C2C: BEFE0114
	global_atomic_add_f32 v6, v135, s[8:9] offset:8            // 000000008C30: DD348008 00088706
	global_atomic_add_f32 v6, v139, s[8:9] offset:264          // 000000008C38: DD348108 00088B06
	s_mov_b64 exec, s[36:37]                                   // 000000008C40: BEFE0124
	v_mov_b32_e32 v6, v78                                      // 000000008C44: 7E0C034E
	s_mov_b64 s[60:61], 0                                      // 000000008C48: BEBC0180
	v_readlane_b32 s82, v3, 28                                 // 000000008C4C: D2890052 00013903
	s_and_b32 s82, s82, 0xffffff                               // 000000008C54: 8652FF52 00FFFFFF
	s_cmp_lt_u32 s82, s66                                      // 000000008C5C: BF0A4252
	s_cselect_b32 s20, s36, s60                                // 000000008C60: 85143C24
	v_readlane_b32 s82, v3, 29                                 // 000000008C64: D2890052 00013B03
	s_and_b32 s82, s82, 0xffffff                               // 000000008C6C: 8652FF52 00FFFFFF
	s_cmp_lt_u32 s82, s66                                      // 000000008C74: BF0A4252
	s_cselect_b32 s21, s36, s60                                // 000000008C78: 85153C24
	s_mov_b64 exec, s[20:21]                                   // 000000008C7C: BEFE0114
	global_atomic_add_f32 v6, v142, s[8:9] offset:8            // 000000008C80: DD348008 00088E06
	global_atomic_add_f32 v6, v146, s[8:9] offset:264          // 000000008C88: DD348108 00089206
	s_mov_b64 exec, s[36:37]                                   // 000000008C90: BEFE0124
	v_mov_b32_e32 v6, v79                                      // 000000008C94: 7E0C034F
	s_mov_b64 s[60:61], 0                                      // 000000008C98: BEBC0180
	v_readlane_b32 s82, v3, 30                                 // 000000008C9C: D2890052 00013D03
	s_and_b32 s82, s82, 0xffffff                               // 000000008CA4: 8652FF52 00FFFFFF
	s_cmp_lt_u32 s82, s66                                      // 000000008CAC: BF0A4252
	s_cselect_b32 s20, s36, s60                                // 000000008CB0: 85143C24
	v_readlane_b32 s82, v3, 31                                 // 000000008CB4: D2890052 00013F03
	s_and_b32 s82, s82, 0xffffff                               // 000000008CBC: 8652FF52 00FFFFFF
	s_cmp_lt_u32 s82, s66                                      // 000000008CC4: BF0A4252
	s_cselect_b32 s21, s36, s60                                // 000000008CC8: 85153C24
	s_mov_b64 exec, s[20:21]                                   // 000000008CCC: BEFE0114
	global_atomic_add_f32 v6, v143, s[8:9] offset:8            // 000000008CD0: DD348008 00088F06
	global_atomic_add_f32 v6, v147, s[8:9] offset:264          // 000000008CD8: DD348108 00089306
	s_mov_b64 exec, s[36:37]                                   // 000000008CE0: BEFE0124
	v_mov_b32_e32 v6, v80                                      // 000000008CE4: 7E0C0350
	s_mov_b64 s[60:61], 0                                      // 000000008CE8: BEBC0180
	v_readlane_b32 s82, v3, 32                                 // 000000008CEC: D2890052 00014103
	s_and_b32 s82, s82, 0xffffff                               // 000000008CF4: 8652FF52 00FFFFFF
	s_cmp_lt_u32 s82, s66                                      // 000000008CFC: BF0A4252
	s_cselect_b32 s20, s36, s60                                // 000000008D00: 85143C24
	v_readlane_b32 s82, v3, 33                                 // 000000008D04: D2890052 00014303
	s_and_b32 s82, s82, 0xffffff                               // 000000008D0C: 8652FF52 00FFFFFF
	s_cmp_lt_u32 s82, s66                                      // 000000008D14: BF0A4252
	s_cselect_b32 s21, s36, s60                                // 000000008D18: 85153C24
	s_mov_b64 exec, s[20:21]                                   // 000000008D1C: BEFE0114
	global_atomic_add_f32 v6, v150, s[8:9] offset:8            // 000000008D20: DD348008 00089606
	global_atomic_add_f32 v6, v154, s[8:9] offset:264          // 000000008D28: DD348108 00089A06
	s_mov_b64 exec, s[36:37]                                   // 000000008D30: BEFE0124
	v_mov_b32_e32 v6, v81                                      // 000000008D34: 7E0C0351
	s_mov_b64 s[60:61], 0                                      // 000000008D38: BEBC0180
	v_readlane_b32 s82, v3, 34                                 // 000000008D3C: D2890052 00014503
	s_and_b32 s82, s82, 0xffffff                               // 000000008D44: 8652FF52 00FFFFFF
	s_cmp_lt_u32 s82, s66                                      // 000000008D4C: BF0A4252
	s_cselect_b32 s20, s36, s60                                // 000000008D50: 85143C24
	v_readlane_b32 s82, v3, 35                                 // 000000008D54: D2890052 00014703
	s_and_b32 s82, s82, 0xffffff                               // 000000008D5C: 8652FF52 00FFFFFF
	s_cmp_lt_u32 s82, s66                                      // 000000008D64: BF0A4252
	s_cselect_b32 s21, s36, s60                                // 000000008D68: 85153C24
	s_mov_b64 exec, s[20:21]                                   // 000000008D6C: BEFE0114
	global_atomic_add_f32 v6, v151, s[8:9] offset:8            // 000000008D70: DD348008 00089706
	global_atomic_add_f32 v6, v155, s[8:9] offset:264          // 000000008D78: DD348108 00089B06
	s_mov_b64 exec, s[36:37]                                   // 000000008D80: BEFE0124
	ds_write_b64 v20, v[156:157]                               // 000000008D84: D89A0000 00009C14
	ds_write_b64 v20, v[160:161] offset:4352                   // 000000008D8C: D89A1100 0000A014
	ds_write_b64 v20, v[164:165] offset:8704                   // 000000008D94: D89A2200 0000A414
	ds_write_b64 v20, v[168:169] offset:13056                  // 000000008D9C: D89A3300 0000A814
	ds_write_b64 v20, v[172:173] offset:17408                  // 000000008DA4: D89A4400 0000AC14
	ds_write_b64 v20, v[176:177] offset:21760                  // 000000008DAC: D89A5500 0000B014
	ds_write_b64 v20, v[180:181] offset:26112                  // 000000008DB4: D89A6600 0000B414
	ds_write_b64 v20, v[184:185] offset:30464                  // 000000008DBC: D89A7700 0000B814
	ds_write_b64 v20, v[188:189] offset:34816                  // 000000008DC4: D89A8800 0000BC14
	ds_write_b64 v20, v[192:193] offset:2176                   // 000000008DCC: D89A0880 0000C014
	ds_write_b64 v20, v[196:197] offset:6528                   // 000000008DD4: D89A1980 0000C414
	ds_write_b64 v20, v[200:201] offset:10880                  // 000000008DDC: D89A2A80 0000C814
	ds_write_b64 v20, v[204:205] offset:15232                  // 000000008DE4: D89A3B80 0000CC14
	ds_write_b64 v20, v[208:209] offset:19584                  // 000000008DEC: D89A4C80 0000D014
	ds_write_b64 v20, v[212:213] offset:23936                  // 000000008DF4: D89A5D80 0000D414
	ds_write_b64 v20, v[216:217] offset:28288                  // 000000008DFC: D89A6E80 0000D814
	ds_write_b64 v20, v[220:221] offset:32640                  // 000000008E04: D89A7F80 0000DC14
	ds_write_b64 v20, v[224:225] offset:36992                  // 000000008E0C: D89A9080 0000E014
	s_waitcnt lgkmcnt(0)                                       // 000000008E14: BF8CC07F
	s_barrier                                                  // 000000008E18: BF8A0000
	ds_read_b32 v156, v21                                      // 000000008E1C: D86C0000 9C000015
	ds_read_b32 v157, v21 offset:64                            // 000000008E24: D86C0040 9D000015
	ds_read_b32 v160, v21 offset:2176                          // 000000008E2C: D86C0880 A0000015
	ds_read_b32 v161, v21 offset:2240                          // 000000008E34: D86C08C0 A1000015
	ds_read_b32 v164, v21 offset:4352                          // 000000008E3C: D86C1100 A4000015
	ds_read_b32 v165, v21 offset:4416                          // 000000008E44: D86C1140 A5000015
	ds_read_b32 v168, v21 offset:6528                          // 000000008E4C: D86C1980 A8000015
	ds_read_b32 v169, v21 offset:6592                          // 000000008E54: D86C19C0 A9000015
	ds_read_b32 v172, v21 offset:8704                          // 000000008E5C: D86C2200 AC000015
	ds_read_b32 v173, v21 offset:8768                          // 000000008E64: D86C2240 AD000015
	ds_read_b32 v176, v21 offset:10880                         // 000000008E6C: D86C2A80 B0000015
	ds_read_b32 v177, v21 offset:10944                         // 000000008E74: D86C2AC0 B1000015
	ds_read_b32 v180, v21 offset:13056                         // 000000008E7C: D86C3300 B4000015
	ds_read_b32 v181, v21 offset:13120                         // 000000008E84: D86C3340 B5000015
	ds_read_b32 v184, v21 offset:15232                         // 000000008E8C: D86C3B80 B8000015
	ds_read_b32 v185, v21 offset:15296                         // 000000008E94: D86C3BC0 B9000015
	ds_read_b32 v188, v21 offset:17408                         // 000000008E9C: D86C4400 BC000015
	ds_read_b32 v189, v21 offset:17472                         // 000000008EA4: D86C4440 BD000015
	ds_read_b32 v192, v21 offset:19584                         // 000000008EAC: D86C4C80 C0000015
	ds_read_b32 v193, v21 offset:19648                         // 000000008EB4: D86C4CC0 C1000015
	ds_read_b32 v196, v21 offset:21760                         // 000000008EBC: D86C5500 C4000015
	ds_read_b32 v197, v21 offset:21824                         // 000000008EC4: D86C5540 C5000015
	ds_read_b32 v200, v21 offset:23936                         // 000000008ECC: D86C5D80 C8000015
	ds_read_b32 v201, v21 offset:24000                         // 000000008ED4: D86C5DC0 C9000015
	ds_read_b32 v204, v21 offset:26112                         // 000000008EDC: D86C6600 CC000015
	ds_read_b32 v205, v21 offset:26176                         // 000000008EE4: D86C6640 CD000015
	ds_read_b32 v208, v21 offset:28288                         // 000000008EEC: D86C6E80 D0000015
	ds_read_b32 v209, v21 offset:28352                         // 000000008EF4: D86C6EC0 D1000015
	ds_read_b32 v212, v21 offset:30464                         // 000000008EFC: D86C7700 D4000015
	ds_read_b32 v213, v21 offset:30528                         // 000000008F04: D86C7740 D5000015
	ds_read_b32 v216, v21 offset:32640                         // 000000008F0C: D86C7F80 D8000015
	ds_read_b32 v217, v21 offset:32704                         // 000000008F14: D86C7FC0 D9000015
	ds_read_b32 v220, v21 offset:34816                         // 000000008F1C: D86C8800 DC000015
	ds_read_b32 v221, v21 offset:34880                         // 000000008F24: D86C8840 DD000015
	ds_read_b32 v224, v21 offset:36992                         // 000000008F2C: D86C9080 E0000015
	ds_read_b32 v225, v21 offset:37056                         // 000000008F34: D86C90C0 E1000015
	s_mul_i32 s60, s65, 4                                      // 000000008F3C: 923C8441
	s_add_u32 s8, s60, s8                                      // 000000008F40: 8008083C
	s_addc_u32 s9, 0, s9                                       // 000000008F44: 82090980
	s_waitcnt lgkmcnt(0)                                       // 000000008F48: BF8CC07F
	v_mov_b32_e32 v7, 0                                        // 000000008F4C: 7E0E0280
	s_mov_b64 exec, s[36:37]                                   // 000000008F50: BEFE0124
	v_mov_b32_e32 v6, v64                                      // 000000008F54: 7E0C0340
	s_mov_b64 s[60:61], 0                                      // 000000008F58: BEBC0180
	v_readlane_b32 s82, v3, 0                                  // 000000008F5C: D2890052 00010103
	s_and_b32 s82, s82, 0xffffff                               // 000000008F64: 8652FF52 00FFFFFF
	s_cmp_lt_u32 s82, s66                                      // 000000008F6C: BF0A4252
	s_cselect_b32 s20, s36, s60                                // 000000008F70: 85143C24
	v_readlane_b32 s82, v3, 1                                  // 000000008F74: D2890052 00010303
	s_and_b32 s82, s82, 0xffffff                               // 000000008F7C: 8652FF52 00FFFFFF
	s_cmp_lt_u32 s82, s66                                      // 000000008F84: BF0A4252
	s_cselect_b32 s21, s36, s60                                // 000000008F88: 85153C24
	s_mov_b64 exec, s[20:21]                                   // 000000008F8C: BEFE0114
	global_atomic_add_f32 v6, v156, s[8:9]                     // 000000008F90: DD348000 00089C06
	global_atomic_add_f32 v6, v160, s[8:9] offset:256          // 000000008F98: DD348100 0008A006
	s_mov_b64 exec, s[36:37]                                   // 000000008FA0: BEFE0124
	v_mov_b32_e32 v6, v65                                      // 000000008FA4: 7E0C0341
	s_mov_b64 s[60:61], 0                                      // 000000008FA8: BEBC0180
	v_readlane_b32 s82, v3, 2                                  // 000000008FAC: D2890052 00010503
	s_and_b32 s82, s82, 0xffffff                               // 000000008FB4: 8652FF52 00FFFFFF
	s_cmp_lt_u32 s82, s66                                      // 000000008FBC: BF0A4252
	s_cselect_b32 s20, s36, s60                                // 000000008FC0: 85143C24
	v_readlane_b32 s82, v3, 3                                  // 000000008FC4: D2890052 00010703
	s_and_b32 s82, s82, 0xffffff                               // 000000008FCC: 8652FF52 00FFFFFF
	s_cmp_lt_u32 s82, s66                                      // 000000008FD4: BF0A4252
	s_cselect_b32 s21, s36, s60                                // 000000008FD8: 85153C24
	s_mov_b64 exec, s[20:21]                                   // 000000008FDC: BEFE0114
	global_atomic_add_f32 v6, v157, s[8:9]                     // 000000008FE0: DD348000 00089D06
	global_atomic_add_f32 v6, v161, s[8:9] offset:256          // 000000008FE8: DD348100 0008A106
	s_mov_b64 exec, s[36:37]                                   // 000000008FF0: BEFE0124
	v_mov_b32_e32 v6, v66                                      // 000000008FF4: 7E0C0342
	s_mov_b64 s[60:61], 0                                      // 000000008FF8: BEBC0180
	v_readlane_b32 s82, v3, 4                                  // 000000008FFC: D2890052 00010903
	s_and_b32 s82, s82, 0xffffff                               // 000000009004: 8652FF52 00FFFFFF
	s_cmp_lt_u32 s82, s66                                      // 00000000900C: BF0A4252
	s_cselect_b32 s20, s36, s60                                // 000000009010: 85143C24
	v_readlane_b32 s82, v3, 5                                  // 000000009014: D2890052 00010B03
	s_and_b32 s82, s82, 0xffffff                               // 00000000901C: 8652FF52 00FFFFFF
	s_cmp_lt_u32 s82, s66                                      // 000000009024: BF0A4252
	s_cselect_b32 s21, s36, s60                                // 000000009028: 85153C24
	s_mov_b64 exec, s[20:21]                                   // 00000000902C: BEFE0114
	global_atomic_add_f32 v6, v164, s[8:9]                     // 000000009030: DD348000 0008A406
	global_atomic_add_f32 v6, v168, s[8:9] offset:256          // 000000009038: DD348100 0008A806
	s_mov_b64 exec, s[36:37]                                   // 000000009040: BEFE0124
	v_mov_b32_e32 v6, v67                                      // 000000009044: 7E0C0343
	s_mov_b64 s[60:61], 0                                      // 000000009048: BEBC0180
	v_readlane_b32 s82, v3, 6                                  // 00000000904C: D2890052 00010D03
	s_and_b32 s82, s82, 0xffffff                               // 000000009054: 8652FF52 00FFFFFF
	s_cmp_lt_u32 s82, s66                                      // 00000000905C: BF0A4252
	s_cselect_b32 s20, s36, s60                                // 000000009060: 85143C24
	v_readlane_b32 s82, v3, 7                                  // 000000009064: D2890052 00010F03
	s_and_b32 s82, s82, 0xffffff                               // 00000000906C: 8652FF52 00FFFFFF
	s_cmp_lt_u32 s82, s66                                      // 000000009074: BF0A4252
	s_cselect_b32 s21, s36, s60                                // 000000009078: 85153C24
	s_mov_b64 exec, s[20:21]                                   // 00000000907C: BEFE0114
	global_atomic_add_f32 v6, v165, s[8:9]                     // 000000009080: DD348000 0008A506
	global_atomic_add_f32 v6, v169, s[8:9] offset:256          // 000000009088: DD348100 0008A906
	s_mov_b64 exec, s[36:37]                                   // 000000009090: BEFE0124
	v_mov_b32_e32 v6, v68                                      // 000000009094: 7E0C0344
	s_mov_b64 s[60:61], 0                                      // 000000009098: BEBC0180
	v_readlane_b32 s82, v3, 8                                  // 00000000909C: D2890052 00011103
	s_and_b32 s82, s82, 0xffffff                               // 0000000090A4: 8652FF52 00FFFFFF
	s_cmp_lt_u32 s82, s66                                      // 0000000090AC: BF0A4252
	s_cselect_b32 s20, s36, s60                                // 0000000090B0: 85143C24
	v_readlane_b32 s82, v3, 9                                  // 0000000090B4: D2890052 00011303
	s_and_b32 s82, s82, 0xffffff                               // 0000000090BC: 8652FF52 00FFFFFF
	s_cmp_lt_u32 s82, s66                                      // 0000000090C4: BF0A4252
	s_cselect_b32 s21, s36, s60                                // 0000000090C8: 85153C24
	s_mov_b64 exec, s[20:21]                                   // 0000000090CC: BEFE0114
	global_atomic_add_f32 v6, v172, s[8:9]                     // 0000000090D0: DD348000 0008AC06
	global_atomic_add_f32 v6, v176, s[8:9] offset:256          // 0000000090D8: DD348100 0008B006
	s_mov_b64 exec, s[36:37]                                   // 0000000090E0: BEFE0124
	v_mov_b32_e32 v6, v69                                      // 0000000090E4: 7E0C0345
	s_mov_b64 s[60:61], 0                                      // 0000000090E8: BEBC0180
	v_readlane_b32 s82, v3, 10                                 // 0000000090EC: D2890052 00011503
	s_and_b32 s82, s82, 0xffffff                               // 0000000090F4: 8652FF52 00FFFFFF
	s_cmp_lt_u32 s82, s66                                      // 0000000090FC: BF0A4252
	s_cselect_b32 s20, s36, s60                                // 000000009100: 85143C24
	v_readlane_b32 s82, v3, 11                                 // 000000009104: D2890052 00011703
	s_and_b32 s82, s82, 0xffffff                               // 00000000910C: 8652FF52 00FFFFFF
	s_cmp_lt_u32 s82, s66                                      // 000000009114: BF0A4252
	s_cselect_b32 s21, s36, s60                                // 000000009118: 85153C24
	s_mov_b64 exec, s[20:21]                                   // 00000000911C: BEFE0114
	global_atomic_add_f32 v6, v173, s[8:9]                     // 000000009120: DD348000 0008AD06
	global_atomic_add_f32 v6, v177, s[8:9] offset:256          // 000000009128: DD348100 0008B106
	s_mov_b64 exec, s[36:37]                                   // 000000009130: BEFE0124
	v_mov_b32_e32 v6, v70                                      // 000000009134: 7E0C0346
	s_mov_b64 s[60:61], 0                                      // 000000009138: BEBC0180
	v_readlane_b32 s82, v3, 12                                 // 00000000913C: D2890052 00011903
	s_and_b32 s82, s82, 0xffffff                               // 000000009144: 8652FF52 00FFFFFF
	s_cmp_lt_u32 s82, s66                                      // 00000000914C: BF0A4252
	s_cselect_b32 s20, s36, s60                                // 000000009150: 85143C24
	v_readlane_b32 s82, v3, 13                                 // 000000009154: D2890052 00011B03
	s_and_b32 s82, s82, 0xffffff                               // 00000000915C: 8652FF52 00FFFFFF
	s_cmp_lt_u32 s82, s66                                      // 000000009164: BF0A4252
	s_cselect_b32 s21, s36, s60                                // 000000009168: 85153C24
	s_mov_b64 exec, s[20:21]                                   // 00000000916C: BEFE0114
	global_atomic_add_f32 v6, v180, s[8:9]                     // 000000009170: DD348000 0008B406
	global_atomic_add_f32 v6, v184, s[8:9] offset:256          // 000000009178: DD348100 0008B806
	s_mov_b64 exec, s[36:37]                                   // 000000009180: BEFE0124
	v_mov_b32_e32 v6, v71                                      // 000000009184: 7E0C0347
	s_mov_b64 s[60:61], 0                                      // 000000009188: BEBC0180
	v_readlane_b32 s82, v3, 14                                 // 00000000918C: D2890052 00011D03
	s_and_b32 s82, s82, 0xffffff                               // 000000009194: 8652FF52 00FFFFFF
	s_cmp_lt_u32 s82, s66                                      // 00000000919C: BF0A4252
	s_cselect_b32 s20, s36, s60                                // 0000000091A0: 85143C24
	v_readlane_b32 s82, v3, 15                                 // 0000000091A4: D2890052 00011F03
	s_and_b32 s82, s82, 0xffffff                               // 0000000091AC: 8652FF52 00FFFFFF
	s_cmp_lt_u32 s82, s66                                      // 0000000091B4: BF0A4252
	s_cselect_b32 s21, s36, s60                                // 0000000091B8: 85153C24
	s_mov_b64 exec, s[20:21]                                   // 0000000091BC: BEFE0114
	global_atomic_add_f32 v6, v181, s[8:9]                     // 0000000091C0: DD348000 0008B506
	global_atomic_add_f32 v6, v185, s[8:9] offset:256          // 0000000091C8: DD348100 0008B906
	s_mov_b64 exec, s[36:37]                                   // 0000000091D0: BEFE0124
	v_mov_b32_e32 v6, v72                                      // 0000000091D4: 7E0C0348
	s_mov_b64 s[60:61], 0                                      // 0000000091D8: BEBC0180
	v_readlane_b32 s82, v3, 16                                 // 0000000091DC: D2890052 00012103
	s_and_b32 s82, s82, 0xffffff                               // 0000000091E4: 8652FF52 00FFFFFF
	s_cmp_lt_u32 s82, s66                                      // 0000000091EC: BF0A4252
	s_cselect_b32 s20, s36, s60                                // 0000000091F0: 85143C24
	v_readlane_b32 s82, v3, 17                                 // 0000000091F4: D2890052 00012303
	s_and_b32 s82, s82, 0xffffff                               // 0000000091FC: 8652FF52 00FFFFFF
	s_cmp_lt_u32 s82, s66                                      // 000000009204: BF0A4252
	s_cselect_b32 s21, s36, s60                                // 000000009208: 85153C24
	s_mov_b64 exec, s[20:21]                                   // 00000000920C: BEFE0114
	global_atomic_add_f32 v6, v188, s[8:9]                     // 000000009210: DD348000 0008BC06
	global_atomic_add_f32 v6, v192, s[8:9] offset:256          // 000000009218: DD348100 0008C006
	s_mov_b64 exec, s[36:37]                                   // 000000009220: BEFE0124
	v_mov_b32_e32 v6, v73                                      // 000000009224: 7E0C0349
	s_mov_b64 s[60:61], 0                                      // 000000009228: BEBC0180
	v_readlane_b32 s82, v3, 18                                 // 00000000922C: D2890052 00012503
	s_and_b32 s82, s82, 0xffffff                               // 000000009234: 8652FF52 00FFFFFF
	s_cmp_lt_u32 s82, s66                                      // 00000000923C: BF0A4252
	s_cselect_b32 s20, s36, s60                                // 000000009240: 85143C24
	v_readlane_b32 s82, v3, 19                                 // 000000009244: D2890052 00012703
	s_and_b32 s82, s82, 0xffffff                               // 00000000924C: 8652FF52 00FFFFFF
	s_cmp_lt_u32 s82, s66                                      // 000000009254: BF0A4252
	s_cselect_b32 s21, s36, s60                                // 000000009258: 85153C24
	s_mov_b64 exec, s[20:21]                                   // 00000000925C: BEFE0114
	global_atomic_add_f32 v6, v189, s[8:9]                     // 000000009260: DD348000 0008BD06
	global_atomic_add_f32 v6, v193, s[8:9] offset:256          // 000000009268: DD348100 0008C106
	s_mov_b64 exec, s[36:37]                                   // 000000009270: BEFE0124
	v_mov_b32_e32 v6, v74                                      // 000000009274: 7E0C034A
	s_mov_b64 s[60:61], 0                                      // 000000009278: BEBC0180
	v_readlane_b32 s82, v3, 20                                 // 00000000927C: D2890052 00012903
	s_and_b32 s82, s82, 0xffffff                               // 000000009284: 8652FF52 00FFFFFF
	s_cmp_lt_u32 s82, s66                                      // 00000000928C: BF0A4252
	s_cselect_b32 s20, s36, s60                                // 000000009290: 85143C24
	v_readlane_b32 s82, v3, 21                                 // 000000009294: D2890052 00012B03
	s_and_b32 s82, s82, 0xffffff                               // 00000000929C: 8652FF52 00FFFFFF
	s_cmp_lt_u32 s82, s66                                      // 0000000092A4: BF0A4252
	s_cselect_b32 s21, s36, s60                                // 0000000092A8: 85153C24
	s_mov_b64 exec, s[20:21]                                   // 0000000092AC: BEFE0114
	global_atomic_add_f32 v6, v196, s[8:9]                     // 0000000092B0: DD348000 0008C406
	global_atomic_add_f32 v6, v200, s[8:9] offset:256          // 0000000092B8: DD348100 0008C806
	s_mov_b64 exec, s[36:37]                                   // 0000000092C0: BEFE0124
	v_mov_b32_e32 v6, v75                                      // 0000000092C4: 7E0C034B
	s_mov_b64 s[60:61], 0                                      // 0000000092C8: BEBC0180
	v_readlane_b32 s82, v3, 22                                 // 0000000092CC: D2890052 00012D03
	s_and_b32 s82, s82, 0xffffff                               // 0000000092D4: 8652FF52 00FFFFFF
	s_cmp_lt_u32 s82, s66                                      // 0000000092DC: BF0A4252
	s_cselect_b32 s20, s36, s60                                // 0000000092E0: 85143C24
	v_readlane_b32 s82, v3, 23                                 // 0000000092E4: D2890052 00012F03
	s_and_b32 s82, s82, 0xffffff                               // 0000000092EC: 8652FF52 00FFFFFF
	s_cmp_lt_u32 s82, s66                                      // 0000000092F4: BF0A4252
	s_cselect_b32 s21, s36, s60                                // 0000000092F8: 85153C24
	s_mov_b64 exec, s[20:21]                                   // 0000000092FC: BEFE0114
	global_atomic_add_f32 v6, v197, s[8:9]                     // 000000009300: DD348000 0008C506
	global_atomic_add_f32 v6, v201, s[8:9] offset:256          // 000000009308: DD348100 0008C906
	s_mov_b64 exec, s[36:37]                                   // 000000009310: BEFE0124
	v_mov_b32_e32 v6, v76                                      // 000000009314: 7E0C034C
	s_mov_b64 s[60:61], 0                                      // 000000009318: BEBC0180
	v_readlane_b32 s82, v3, 24                                 // 00000000931C: D2890052 00013103
	s_and_b32 s82, s82, 0xffffff                               // 000000009324: 8652FF52 00FFFFFF
	s_cmp_lt_u32 s82, s66                                      // 00000000932C: BF0A4252
	s_cselect_b32 s20, s36, s60                                // 000000009330: 85143C24
	v_readlane_b32 s82, v3, 25                                 // 000000009334: D2890052 00013303
	s_and_b32 s82, s82, 0xffffff                               // 00000000933C: 8652FF52 00FFFFFF
	s_cmp_lt_u32 s82, s66                                      // 000000009344: BF0A4252
	s_cselect_b32 s21, s36, s60                                // 000000009348: 85153C24
	s_mov_b64 exec, s[20:21]                                   // 00000000934C: BEFE0114
	global_atomic_add_f32 v6, v204, s[8:9]                     // 000000009350: DD348000 0008CC06
	global_atomic_add_f32 v6, v208, s[8:9] offset:256          // 000000009358: DD348100 0008D006
	s_mov_b64 exec, s[36:37]                                   // 000000009360: BEFE0124
	v_mov_b32_e32 v6, v77                                      // 000000009364: 7E0C034D
	s_mov_b64 s[60:61], 0                                      // 000000009368: BEBC0180
	v_readlane_b32 s82, v3, 26                                 // 00000000936C: D2890052 00013503
	s_and_b32 s82, s82, 0xffffff                               // 000000009374: 8652FF52 00FFFFFF
	s_cmp_lt_u32 s82, s66                                      // 00000000937C: BF0A4252
	s_cselect_b32 s20, s36, s60                                // 000000009380: 85143C24
	v_readlane_b32 s82, v3, 27                                 // 000000009384: D2890052 00013703
	s_and_b32 s82, s82, 0xffffff                               // 00000000938C: 8652FF52 00FFFFFF
	s_cmp_lt_u32 s82, s66                                      // 000000009394: BF0A4252
	s_cselect_b32 s21, s36, s60                                // 000000009398: 85153C24
	s_mov_b64 exec, s[20:21]                                   // 00000000939C: BEFE0114
	global_atomic_add_f32 v6, v205, s[8:9]                     // 0000000093A0: DD348000 0008CD06
	global_atomic_add_f32 v6, v209, s[8:9] offset:256          // 0000000093A8: DD348100 0008D106
	s_mov_b64 exec, s[36:37]                                   // 0000000093B0: BEFE0124
	v_mov_b32_e32 v6, v78                                      // 0000000093B4: 7E0C034E
	s_mov_b64 s[60:61], 0                                      // 0000000093B8: BEBC0180
	v_readlane_b32 s82, v3, 28                                 // 0000000093BC: D2890052 00013903
	s_and_b32 s82, s82, 0xffffff                               // 0000000093C4: 8652FF52 00FFFFFF
	s_cmp_lt_u32 s82, s66                                      // 0000000093CC: BF0A4252
	s_cselect_b32 s20, s36, s60                                // 0000000093D0: 85143C24
	v_readlane_b32 s82, v3, 29                                 // 0000000093D4: D2890052 00013B03
	s_and_b32 s82, s82, 0xffffff                               // 0000000093DC: 8652FF52 00FFFFFF
	s_cmp_lt_u32 s82, s66                                      // 0000000093E4: BF0A4252
	s_cselect_b32 s21, s36, s60                                // 0000000093E8: 85153C24
	s_mov_b64 exec, s[20:21]                                   // 0000000093EC: BEFE0114
	global_atomic_add_f32 v6, v212, s[8:9]                     // 0000000093F0: DD348000 0008D406
	global_atomic_add_f32 v6, v216, s[8:9] offset:256          // 0000000093F8: DD348100 0008D806
	s_mov_b64 exec, s[36:37]                                   // 000000009400: BEFE0124
	v_mov_b32_e32 v6, v79                                      // 000000009404: 7E0C034F
	s_mov_b64 s[60:61], 0                                      // 000000009408: BEBC0180
	v_readlane_b32 s82, v3, 30                                 // 00000000940C: D2890052 00013D03
	s_and_b32 s82, s82, 0xffffff                               // 000000009414: 8652FF52 00FFFFFF
	s_cmp_lt_u32 s82, s66                                      // 00000000941C: BF0A4252
	s_cselect_b32 s20, s36, s60                                // 000000009420: 85143C24
	v_readlane_b32 s82, v3, 31                                 // 000000009424: D2890052 00013F03
	s_and_b32 s82, s82, 0xffffff                               // 00000000942C: 8652FF52 00FFFFFF
	s_cmp_lt_u32 s82, s66                                      // 000000009434: BF0A4252
	s_cselect_b32 s21, s36, s60                                // 000000009438: 85153C24
	s_mov_b64 exec, s[20:21]                                   // 00000000943C: BEFE0114
	global_atomic_add_f32 v6, v213, s[8:9]                     // 000000009440: DD348000 0008D506
	global_atomic_add_f32 v6, v217, s[8:9] offset:256          // 000000009448: DD348100 0008D906
	s_mov_b64 exec, s[36:37]                                   // 000000009450: BEFE0124
	v_mov_b32_e32 v6, v80                                      // 000000009454: 7E0C0350
	s_mov_b64 s[60:61], 0                                      // 000000009458: BEBC0180
	v_readlane_b32 s82, v3, 32                                 // 00000000945C: D2890052 00014103
	s_and_b32 s82, s82, 0xffffff                               // 000000009464: 8652FF52 00FFFFFF
	s_cmp_lt_u32 s82, s66                                      // 00000000946C: BF0A4252
	s_cselect_b32 s20, s36, s60                                // 000000009470: 85143C24
	v_readlane_b32 s82, v3, 33                                 // 000000009474: D2890052 00014303
	s_and_b32 s82, s82, 0xffffff                               // 00000000947C: 8652FF52 00FFFFFF
	s_cmp_lt_u32 s82, s66                                      // 000000009484: BF0A4252
	s_cselect_b32 s21, s36, s60                                // 000000009488: 85153C24
	s_mov_b64 exec, s[20:21]                                   // 00000000948C: BEFE0114
	global_atomic_add_f32 v6, v220, s[8:9]                     // 000000009490: DD348000 0008DC06
	global_atomic_add_f32 v6, v224, s[8:9] offset:256          // 000000009498: DD348100 0008E006
	s_mov_b64 exec, s[36:37]                                   // 0000000094A0: BEFE0124
	v_mov_b32_e32 v6, v81                                      // 0000000094A4: 7E0C0351
	s_mov_b64 s[60:61], 0                                      // 0000000094A8: BEBC0180
	v_readlane_b32 s82, v3, 34                                 // 0000000094AC: D2890052 00014503
	s_and_b32 s82, s82, 0xffffff                               // 0000000094B4: 8652FF52 00FFFFFF
	s_cmp_lt_u32 s82, s66                                      // 0000000094BC: BF0A4252
	s_cselect_b32 s20, s36, s60                                // 0000000094C0: 85143C24
	v_readlane_b32 s82, v3, 35                                 // 0000000094C4: D2890052 00014703
	s_and_b32 s82, s82, 0xffffff                               // 0000000094CC: 8652FF52 00FFFFFF
	s_cmp_lt_u32 s82, s66                                      // 0000000094D4: BF0A4252
	s_cselect_b32 s21, s36, s60                                // 0000000094D8: 85153C24
	s_mov_b64 exec, s[20:21]                                   // 0000000094DC: BEFE0114
	global_atomic_add_f32 v6, v221, s[8:9]                     // 0000000094E0: DD348000 0008DD06
	global_atomic_add_f32 v6, v225, s[8:9] offset:256          // 0000000094E8: DD348100 0008E106
	s_mov_b64 exec, s[36:37]                                   // 0000000094F0: BEFE0124
	ds_write_b64 v20, v[158:159]                               // 0000000094F4: D89A0000 00009E14
	ds_write_b64 v20, v[162:163] offset:4352                   // 0000000094FC: D89A1100 0000A214
	ds_write_b64 v20, v[166:167] offset:8704                   // 000000009504: D89A2200 0000A614
	ds_write_b64 v20, v[170:171] offset:13056                  // 00000000950C: D89A3300 0000AA14
	ds_write_b64 v20, v[174:175] offset:17408                  // 000000009514: D89A4400 0000AE14
	ds_write_b64 v20, v[178:179] offset:21760                  // 00000000951C: D89A5500 0000B214
	ds_write_b64 v20, v[182:183] offset:26112                  // 000000009524: D89A6600 0000B614
	ds_write_b64 v20, v[186:187] offset:30464                  // 00000000952C: D89A7700 0000BA14
	ds_write_b64 v20, v[190:191] offset:34816                  // 000000009534: D89A8800 0000BE14
	ds_write_b64 v20, v[194:195] offset:2176                   // 00000000953C: D89A0880 0000C214
	ds_write_b64 v20, v[198:199] offset:6528                   // 000000009544: D89A1980 0000C614
	ds_write_b64 v20, v[202:203] offset:10880                  // 00000000954C: D89A2A80 0000CA14
	ds_write_b64 v20, v[206:207] offset:15232                  // 000000009554: D89A3B80 0000CE14
	ds_write_b64 v20, v[210:211] offset:19584                  // 00000000955C: D89A4C80 0000D214
	ds_write_b64 v20, v[214:215] offset:23936                  // 000000009564: D89A5D80 0000D614
	ds_write_b64 v20, v[218:219] offset:28288                  // 00000000956C: D89A6E80 0000DA14
	ds_write_b64 v20, v[222:223] offset:32640                  // 000000009574: D89A7F80 0000DE14
	ds_write_b64 v20, v[226:227] offset:36992                  // 00000000957C: D89A9080 0000E214
	s_waitcnt lgkmcnt(0)                                       // 000000009584: BF8CC07F
	s_barrier                                                  // 000000009588: BF8A0000
	ds_read_b32 v158, v21                                      // 00000000958C: D86C0000 9E000015
	ds_read_b32 v159, v21 offset:64                            // 000000009594: D86C0040 9F000015
	ds_read_b32 v162, v21 offset:2176                          // 00000000959C: D86C0880 A2000015
	ds_read_b32 v163, v21 offset:2240                          // 0000000095A4: D86C08C0 A3000015
	ds_read_b32 v166, v21 offset:4352                          // 0000000095AC: D86C1100 A6000015
	ds_read_b32 v167, v21 offset:4416                          // 0000000095B4: D86C1140 A7000015
	ds_read_b32 v170, v21 offset:6528                          // 0000000095BC: D86C1980 AA000015
	ds_read_b32 v171, v21 offset:6592                          // 0000000095C4: D86C19C0 AB000015
	ds_read_b32 v174, v21 offset:8704                          // 0000000095CC: D86C2200 AE000015
	ds_read_b32 v175, v21 offset:8768                          // 0000000095D4: D86C2240 AF000015
	ds_read_b32 v178, v21 offset:10880                         // 0000000095DC: D86C2A80 B2000015
	ds_read_b32 v179, v21 offset:10944                         // 0000000095E4: D86C2AC0 B3000015
	ds_read_b32 v182, v21 offset:13056                         // 0000000095EC: D86C3300 B6000015
	ds_read_b32 v183, v21 offset:13120                         // 0000000095F4: D86C3340 B7000015
	ds_read_b32 v186, v21 offset:15232                         // 0000000095FC: D86C3B80 BA000015
	ds_read_b32 v187, v21 offset:15296                         // 000000009604: D86C3BC0 BB000015
	ds_read_b32 v190, v21 offset:17408                         // 00000000960C: D86C4400 BE000015
	ds_read_b32 v191, v21 offset:17472                         // 000000009614: D86C4440 BF000015
	ds_read_b32 v194, v21 offset:19584                         // 00000000961C: D86C4C80 C2000015
	ds_read_b32 v195, v21 offset:19648                         // 000000009624: D86C4CC0 C3000015
	ds_read_b32 v198, v21 offset:21760                         // 00000000962C: D86C5500 C6000015
	ds_read_b32 v199, v21 offset:21824                         // 000000009634: D86C5540 C7000015
	ds_read_b32 v202, v21 offset:23936                         // 00000000963C: D86C5D80 CA000015
	ds_read_b32 v203, v21 offset:24000                         // 000000009644: D86C5DC0 CB000015
	ds_read_b32 v206, v21 offset:26112                         // 00000000964C: D86C6600 CE000015
	ds_read_b32 v207, v21 offset:26176                         // 000000009654: D86C6640 CF000015
	ds_read_b32 v210, v21 offset:28288                         // 00000000965C: D86C6E80 D2000015
	ds_read_b32 v211, v21 offset:28352                         // 000000009664: D86C6EC0 D3000015
	ds_read_b32 v214, v21 offset:30464                         // 00000000966C: D86C7700 D6000015
	ds_read_b32 v215, v21 offset:30528                         // 000000009674: D86C7740 D7000015
	ds_read_b32 v218, v21 offset:32640                         // 00000000967C: D86C7F80 DA000015
	ds_read_b32 v219, v21 offset:32704                         // 000000009684: D86C7FC0 DB000015
	ds_read_b32 v222, v21 offset:34816                         // 00000000968C: D86C8800 DE000015
	ds_read_b32 v223, v21 offset:34880                         // 000000009694: D86C8840 DF000015
	ds_read_b32 v226, v21 offset:36992                         // 00000000969C: D86C9080 E2000015
	ds_read_b32 v227, v21 offset:37056                         // 0000000096A4: D86C90C0 E3000015
	s_waitcnt lgkmcnt(0)                                       // 0000000096AC: BF8CC07F
	v_mov_b32_e32 v7, 0                                        // 0000000096B0: 7E0E0280
	s_mov_b64 exec, s[36:37]                                   // 0000000096B4: BEFE0124
	v_mov_b32_e32 v6, v64                                      // 0000000096B8: 7E0C0340
	s_mov_b64 s[60:61], 0                                      // 0000000096BC: BEBC0180
	v_readlane_b32 s82, v3, 0                                  // 0000000096C0: D2890052 00010103
	s_and_b32 s82, s82, 0xffffff                               // 0000000096C8: 8652FF52 00FFFFFF
	s_cmp_lt_u32 s82, s66                                      // 0000000096D0: BF0A4252
	s_cselect_b32 s20, s36, s60                                // 0000000096D4: 85143C24
	v_readlane_b32 s82, v3, 1                                  // 0000000096D8: D2890052 00010303
	s_and_b32 s82, s82, 0xffffff                               // 0000000096E0: 8652FF52 00FFFFFF
	s_cmp_lt_u32 s82, s66                                      // 0000000096E8: BF0A4252
	s_cselect_b32 s21, s36, s60                                // 0000000096EC: 85153C24
	s_mov_b64 exec, s[20:21]                                   // 0000000096F0: BEFE0114
	global_atomic_add_f32 v6, v158, s[8:9] offset:8            // 0000000096F4: DD348008 00089E06
	global_atomic_add_f32 v6, v162, s[8:9] offset:264          // 0000000096FC: DD348108 0008A206
	s_mov_b64 exec, s[36:37]                                   // 000000009704: BEFE0124
	v_mov_b32_e32 v6, v65                                      // 000000009708: 7E0C0341
	s_mov_b64 s[60:61], 0                                      // 00000000970C: BEBC0180
	v_readlane_b32 s82, v3, 2                                  // 000000009710: D2890052 00010503
	s_and_b32 s82, s82, 0xffffff                               // 000000009718: 8652FF52 00FFFFFF
	s_cmp_lt_u32 s82, s66                                      // 000000009720: BF0A4252
	s_cselect_b32 s20, s36, s60                                // 000000009724: 85143C24
	v_readlane_b32 s82, v3, 3                                  // 000000009728: D2890052 00010703
	s_and_b32 s82, s82, 0xffffff                               // 000000009730: 8652FF52 00FFFFFF
	s_cmp_lt_u32 s82, s66                                      // 000000009738: BF0A4252
	s_cselect_b32 s21, s36, s60                                // 00000000973C: 85153C24
	s_mov_b64 exec, s[20:21]                                   // 000000009740: BEFE0114
	global_atomic_add_f32 v6, v159, s[8:9] offset:8            // 000000009744: DD348008 00089F06
	global_atomic_add_f32 v6, v163, s[8:9] offset:264          // 00000000974C: DD348108 0008A306
	s_mov_b64 exec, s[36:37]                                   // 000000009754: BEFE0124
	v_mov_b32_e32 v6, v66                                      // 000000009758: 7E0C0342
	s_mov_b64 s[60:61], 0                                      // 00000000975C: BEBC0180
	v_readlane_b32 s82, v3, 4                                  // 000000009760: D2890052 00010903
	s_and_b32 s82, s82, 0xffffff                               // 000000009768: 8652FF52 00FFFFFF
	s_cmp_lt_u32 s82, s66                                      // 000000009770: BF0A4252
	s_cselect_b32 s20, s36, s60                                // 000000009774: 85143C24
	v_readlane_b32 s82, v3, 5                                  // 000000009778: D2890052 00010B03
	s_and_b32 s82, s82, 0xffffff                               // 000000009780: 8652FF52 00FFFFFF
	s_cmp_lt_u32 s82, s66                                      // 000000009788: BF0A4252
	s_cselect_b32 s21, s36, s60                                // 00000000978C: 85153C24
	s_mov_b64 exec, s[20:21]                                   // 000000009790: BEFE0114
	global_atomic_add_f32 v6, v166, s[8:9] offset:8            // 000000009794: DD348008 0008A606
	global_atomic_add_f32 v6, v170, s[8:9] offset:264          // 00000000979C: DD348108 0008AA06
	s_mov_b64 exec, s[36:37]                                   // 0000000097A4: BEFE0124
	v_mov_b32_e32 v6, v67                                      // 0000000097A8: 7E0C0343
	s_mov_b64 s[60:61], 0                                      // 0000000097AC: BEBC0180
	v_readlane_b32 s82, v3, 6                                  // 0000000097B0: D2890052 00010D03
	s_and_b32 s82, s82, 0xffffff                               // 0000000097B8: 8652FF52 00FFFFFF
	s_cmp_lt_u32 s82, s66                                      // 0000000097C0: BF0A4252
	s_cselect_b32 s20, s36, s60                                // 0000000097C4: 85143C24
	v_readlane_b32 s82, v3, 7                                  // 0000000097C8: D2890052 00010F03
	s_and_b32 s82, s82, 0xffffff                               // 0000000097D0: 8652FF52 00FFFFFF
	s_cmp_lt_u32 s82, s66                                      // 0000000097D8: BF0A4252
	s_cselect_b32 s21, s36, s60                                // 0000000097DC: 85153C24
	s_mov_b64 exec, s[20:21]                                   // 0000000097E0: BEFE0114
	global_atomic_add_f32 v6, v167, s[8:9] offset:8            // 0000000097E4: DD348008 0008A706
	global_atomic_add_f32 v6, v171, s[8:9] offset:264          // 0000000097EC: DD348108 0008AB06
	s_mov_b64 exec, s[36:37]                                   // 0000000097F4: BEFE0124
	v_mov_b32_e32 v6, v68                                      // 0000000097F8: 7E0C0344
	s_mov_b64 s[60:61], 0                                      // 0000000097FC: BEBC0180
	v_readlane_b32 s82, v3, 8                                  // 000000009800: D2890052 00011103
	s_and_b32 s82, s82, 0xffffff                               // 000000009808: 8652FF52 00FFFFFF
	s_cmp_lt_u32 s82, s66                                      // 000000009810: BF0A4252
	s_cselect_b32 s20, s36, s60                                // 000000009814: 85143C24
	v_readlane_b32 s82, v3, 9                                  // 000000009818: D2890052 00011303
	s_and_b32 s82, s82, 0xffffff                               // 000000009820: 8652FF52 00FFFFFF
	s_cmp_lt_u32 s82, s66                                      // 000000009828: BF0A4252
	s_cselect_b32 s21, s36, s60                                // 00000000982C: 85153C24
	s_mov_b64 exec, s[20:21]                                   // 000000009830: BEFE0114
	global_atomic_add_f32 v6, v174, s[8:9] offset:8            // 000000009834: DD348008 0008AE06
	global_atomic_add_f32 v6, v178, s[8:9] offset:264          // 00000000983C: DD348108 0008B206
	s_mov_b64 exec, s[36:37]                                   // 000000009844: BEFE0124
	v_mov_b32_e32 v6, v69                                      // 000000009848: 7E0C0345
	s_mov_b64 s[60:61], 0                                      // 00000000984C: BEBC0180
	v_readlane_b32 s82, v3, 10                                 // 000000009850: D2890052 00011503
	s_and_b32 s82, s82, 0xffffff                               // 000000009858: 8652FF52 00FFFFFF
	s_cmp_lt_u32 s82, s66                                      // 000000009860: BF0A4252
	s_cselect_b32 s20, s36, s60                                // 000000009864: 85143C24
	v_readlane_b32 s82, v3, 11                                 // 000000009868: D2890052 00011703
	s_and_b32 s82, s82, 0xffffff                               // 000000009870: 8652FF52 00FFFFFF
	s_cmp_lt_u32 s82, s66                                      // 000000009878: BF0A4252
	s_cselect_b32 s21, s36, s60                                // 00000000987C: 85153C24
	s_mov_b64 exec, s[20:21]                                   // 000000009880: BEFE0114
	global_atomic_add_f32 v6, v175, s[8:9] offset:8            // 000000009884: DD348008 0008AF06
	global_atomic_add_f32 v6, v179, s[8:9] offset:264          // 00000000988C: DD348108 0008B306
	s_mov_b64 exec, s[36:37]                                   // 000000009894: BEFE0124
	v_mov_b32_e32 v6, v70                                      // 000000009898: 7E0C0346
	s_mov_b64 s[60:61], 0                                      // 00000000989C: BEBC0180
	v_readlane_b32 s82, v3, 12                                 // 0000000098A0: D2890052 00011903
	s_and_b32 s82, s82, 0xffffff                               // 0000000098A8: 8652FF52 00FFFFFF
	s_cmp_lt_u32 s82, s66                                      // 0000000098B0: BF0A4252
	s_cselect_b32 s20, s36, s60                                // 0000000098B4: 85143C24
	v_readlane_b32 s82, v3, 13                                 // 0000000098B8: D2890052 00011B03
	s_and_b32 s82, s82, 0xffffff                               // 0000000098C0: 8652FF52 00FFFFFF
	s_cmp_lt_u32 s82, s66                                      // 0000000098C8: BF0A4252
	s_cselect_b32 s21, s36, s60                                // 0000000098CC: 85153C24
	s_mov_b64 exec, s[20:21]                                   // 0000000098D0: BEFE0114
	global_atomic_add_f32 v6, v182, s[8:9] offset:8            // 0000000098D4: DD348008 0008B606
	global_atomic_add_f32 v6, v186, s[8:9] offset:264          // 0000000098DC: DD348108 0008BA06
	s_mov_b64 exec, s[36:37]                                   // 0000000098E4: BEFE0124
	v_mov_b32_e32 v6, v71                                      // 0000000098E8: 7E0C0347
	s_mov_b64 s[60:61], 0                                      // 0000000098EC: BEBC0180
	v_readlane_b32 s82, v3, 14                                 // 0000000098F0: D2890052 00011D03
	s_and_b32 s82, s82, 0xffffff                               // 0000000098F8: 8652FF52 00FFFFFF
	s_cmp_lt_u32 s82, s66                                      // 000000009900: BF0A4252
	s_cselect_b32 s20, s36, s60                                // 000000009904: 85143C24
	v_readlane_b32 s82, v3, 15                                 // 000000009908: D2890052 00011F03
	s_and_b32 s82, s82, 0xffffff                               // 000000009910: 8652FF52 00FFFFFF
	s_cmp_lt_u32 s82, s66                                      // 000000009918: BF0A4252
	s_cselect_b32 s21, s36, s60                                // 00000000991C: 85153C24
	s_mov_b64 exec, s[20:21]                                   // 000000009920: BEFE0114
	global_atomic_add_f32 v6, v183, s[8:9] offset:8            // 000000009924: DD348008 0008B706
	global_atomic_add_f32 v6, v187, s[8:9] offset:264          // 00000000992C: DD348108 0008BB06
	s_mov_b64 exec, s[36:37]                                   // 000000009934: BEFE0124
	v_mov_b32_e32 v6, v72                                      // 000000009938: 7E0C0348
	s_mov_b64 s[60:61], 0                                      // 00000000993C: BEBC0180
	v_readlane_b32 s82, v3, 16                                 // 000000009940: D2890052 00012103
	s_and_b32 s82, s82, 0xffffff                               // 000000009948: 8652FF52 00FFFFFF
	s_cmp_lt_u32 s82, s66                                      // 000000009950: BF0A4252
	s_cselect_b32 s20, s36, s60                                // 000000009954: 85143C24
	v_readlane_b32 s82, v3, 17                                 // 000000009958: D2890052 00012303
	s_and_b32 s82, s82, 0xffffff                               // 000000009960: 8652FF52 00FFFFFF
	s_cmp_lt_u32 s82, s66                                      // 000000009968: BF0A4252
	s_cselect_b32 s21, s36, s60                                // 00000000996C: 85153C24
	s_mov_b64 exec, s[20:21]                                   // 000000009970: BEFE0114
	global_atomic_add_f32 v6, v190, s[8:9] offset:8            // 000000009974: DD348008 0008BE06
	global_atomic_add_f32 v6, v194, s[8:9] offset:264          // 00000000997C: DD348108 0008C206
	s_mov_b64 exec, s[36:37]                                   // 000000009984: BEFE0124
	v_mov_b32_e32 v6, v73                                      // 000000009988: 7E0C0349
	s_mov_b64 s[60:61], 0                                      // 00000000998C: BEBC0180
	v_readlane_b32 s82, v3, 18                                 // 000000009990: D2890052 00012503
	s_and_b32 s82, s82, 0xffffff                               // 000000009998: 8652FF52 00FFFFFF
	s_cmp_lt_u32 s82, s66                                      // 0000000099A0: BF0A4252
	s_cselect_b32 s20, s36, s60                                // 0000000099A4: 85143C24
	v_readlane_b32 s82, v3, 19                                 // 0000000099A8: D2890052 00012703
	s_and_b32 s82, s82, 0xffffff                               // 0000000099B0: 8652FF52 00FFFFFF
	s_cmp_lt_u32 s82, s66                                      // 0000000099B8: BF0A4252
	s_cselect_b32 s21, s36, s60                                // 0000000099BC: 85153C24
	s_mov_b64 exec, s[20:21]                                   // 0000000099C0: BEFE0114
	global_atomic_add_f32 v6, v191, s[8:9] offset:8            // 0000000099C4: DD348008 0008BF06
	global_atomic_add_f32 v6, v195, s[8:9] offset:264          // 0000000099CC: DD348108 0008C306
	s_mov_b64 exec, s[36:37]                                   // 0000000099D4: BEFE0124
	v_mov_b32_e32 v6, v74                                      // 0000000099D8: 7E0C034A
	s_mov_b64 s[60:61], 0                                      // 0000000099DC: BEBC0180
	v_readlane_b32 s82, v3, 20                                 // 0000000099E0: D2890052 00012903
	s_and_b32 s82, s82, 0xffffff                               // 0000000099E8: 8652FF52 00FFFFFF
	s_cmp_lt_u32 s82, s66                                      // 0000000099F0: BF0A4252
	s_cselect_b32 s20, s36, s60                                // 0000000099F4: 85143C24
	v_readlane_b32 s82, v3, 21                                 // 0000000099F8: D2890052 00012B03
	s_and_b32 s82, s82, 0xffffff                               // 000000009A00: 8652FF52 00FFFFFF
	s_cmp_lt_u32 s82, s66                                      // 000000009A08: BF0A4252
	s_cselect_b32 s21, s36, s60                                // 000000009A0C: 85153C24
	s_mov_b64 exec, s[20:21]                                   // 000000009A10: BEFE0114
	global_atomic_add_f32 v6, v198, s[8:9] offset:8            // 000000009A14: DD348008 0008C606
	global_atomic_add_f32 v6, v202, s[8:9] offset:264          // 000000009A1C: DD348108 0008CA06
	s_mov_b64 exec, s[36:37]                                   // 000000009A24: BEFE0124
	v_mov_b32_e32 v6, v75                                      // 000000009A28: 7E0C034B
	s_mov_b64 s[60:61], 0                                      // 000000009A2C: BEBC0180
	v_readlane_b32 s82, v3, 22                                 // 000000009A30: D2890052 00012D03
	s_and_b32 s82, s82, 0xffffff                               // 000000009A38: 8652FF52 00FFFFFF
	s_cmp_lt_u32 s82, s66                                      // 000000009A40: BF0A4252
	s_cselect_b32 s20, s36, s60                                // 000000009A44: 85143C24
	v_readlane_b32 s82, v3, 23                                 // 000000009A48: D2890052 00012F03
	s_and_b32 s82, s82, 0xffffff                               // 000000009A50: 8652FF52 00FFFFFF
	s_cmp_lt_u32 s82, s66                                      // 000000009A58: BF0A4252
	s_cselect_b32 s21, s36, s60                                // 000000009A5C: 85153C24
	s_mov_b64 exec, s[20:21]                                   // 000000009A60: BEFE0114
	global_atomic_add_f32 v6, v199, s[8:9] offset:8            // 000000009A64: DD348008 0008C706
	global_atomic_add_f32 v6, v203, s[8:9] offset:264          // 000000009A6C: DD348108 0008CB06
	s_mov_b64 exec, s[36:37]                                   // 000000009A74: BEFE0124
	v_mov_b32_e32 v6, v76                                      // 000000009A78: 7E0C034C
	s_mov_b64 s[60:61], 0                                      // 000000009A7C: BEBC0180
	v_readlane_b32 s82, v3, 24                                 // 000000009A80: D2890052 00013103
	s_and_b32 s82, s82, 0xffffff                               // 000000009A88: 8652FF52 00FFFFFF
	s_cmp_lt_u32 s82, s66                                      // 000000009A90: BF0A4252
	s_cselect_b32 s20, s36, s60                                // 000000009A94: 85143C24
	v_readlane_b32 s82, v3, 25                                 // 000000009A98: D2890052 00013303
	s_and_b32 s82, s82, 0xffffff                               // 000000009AA0: 8652FF52 00FFFFFF
	s_cmp_lt_u32 s82, s66                                      // 000000009AA8: BF0A4252
	s_cselect_b32 s21, s36, s60                                // 000000009AAC: 85153C24
	s_mov_b64 exec, s[20:21]                                   // 000000009AB0: BEFE0114
	global_atomic_add_f32 v6, v206, s[8:9] offset:8            // 000000009AB4: DD348008 0008CE06
	global_atomic_add_f32 v6, v210, s[8:9] offset:264          // 000000009ABC: DD348108 0008D206
	s_mov_b64 exec, s[36:37]                                   // 000000009AC4: BEFE0124
	v_mov_b32_e32 v6, v77                                      // 000000009AC8: 7E0C034D
	s_mov_b64 s[60:61], 0                                      // 000000009ACC: BEBC0180
	v_readlane_b32 s82, v3, 26                                 // 000000009AD0: D2890052 00013503
	s_and_b32 s82, s82, 0xffffff                               // 000000009AD8: 8652FF52 00FFFFFF
	s_cmp_lt_u32 s82, s66                                      // 000000009AE0: BF0A4252
	s_cselect_b32 s20, s36, s60                                // 000000009AE4: 85143C24
	v_readlane_b32 s82, v3, 27                                 // 000000009AE8: D2890052 00013703
	s_and_b32 s82, s82, 0xffffff                               // 000000009AF0: 8652FF52 00FFFFFF
	s_cmp_lt_u32 s82, s66                                      // 000000009AF8: BF0A4252
	s_cselect_b32 s21, s36, s60                                // 000000009AFC: 85153C24
	s_mov_b64 exec, s[20:21]                                   // 000000009B00: BEFE0114
	global_atomic_add_f32 v6, v207, s[8:9] offset:8            // 000000009B04: DD348008 0008CF06
	global_atomic_add_f32 v6, v211, s[8:9] offset:264          // 000000009B0C: DD348108 0008D306
	s_mov_b64 exec, s[36:37]                                   // 000000009B14: BEFE0124
	v_mov_b32_e32 v6, v78                                      // 000000009B18: 7E0C034E
	s_mov_b64 s[60:61], 0                                      // 000000009B1C: BEBC0180
	v_readlane_b32 s82, v3, 28                                 // 000000009B20: D2890052 00013903
	s_and_b32 s82, s82, 0xffffff                               // 000000009B28: 8652FF52 00FFFFFF
	s_cmp_lt_u32 s82, s66                                      // 000000009B30: BF0A4252
	s_cselect_b32 s20, s36, s60                                // 000000009B34: 85143C24
	v_readlane_b32 s82, v3, 29                                 // 000000009B38: D2890052 00013B03
	s_and_b32 s82, s82, 0xffffff                               // 000000009B40: 8652FF52 00FFFFFF
	s_cmp_lt_u32 s82, s66                                      // 000000009B48: BF0A4252
	s_cselect_b32 s21, s36, s60                                // 000000009B4C: 85153C24
	s_mov_b64 exec, s[20:21]                                   // 000000009B50: BEFE0114
	global_atomic_add_f32 v6, v214, s[8:9] offset:8            // 000000009B54: DD348008 0008D606
	global_atomic_add_f32 v6, v218, s[8:9] offset:264          // 000000009B5C: DD348108 0008DA06
	s_mov_b64 exec, s[36:37]                                   // 000000009B64: BEFE0124
	v_mov_b32_e32 v6, v79                                      // 000000009B68: 7E0C034F
	s_mov_b64 s[60:61], 0                                      // 000000009B6C: BEBC0180
	v_readlane_b32 s82, v3, 30                                 // 000000009B70: D2890052 00013D03
	s_and_b32 s82, s82, 0xffffff                               // 000000009B78: 8652FF52 00FFFFFF
	s_cmp_lt_u32 s82, s66                                      // 000000009B80: BF0A4252
	s_cselect_b32 s20, s36, s60                                // 000000009B84: 85143C24
	v_readlane_b32 s82, v3, 31                                 // 000000009B88: D2890052 00013F03
	s_and_b32 s82, s82, 0xffffff                               // 000000009B90: 8652FF52 00FFFFFF
	s_cmp_lt_u32 s82, s66                                      // 000000009B98: BF0A4252
	s_cselect_b32 s21, s36, s60                                // 000000009B9C: 85153C24
	s_mov_b64 exec, s[20:21]                                   // 000000009BA0: BEFE0114
	global_atomic_add_f32 v6, v215, s[8:9] offset:8            // 000000009BA4: DD348008 0008D706
	global_atomic_add_f32 v6, v219, s[8:9] offset:264          // 000000009BAC: DD348108 0008DB06
	s_mov_b64 exec, s[36:37]                                   // 000000009BB4: BEFE0124
	v_mov_b32_e32 v6, v80                                      // 000000009BB8: 7E0C0350
	s_mov_b64 s[60:61], 0                                      // 000000009BBC: BEBC0180
	v_readlane_b32 s82, v3, 32                                 // 000000009BC0: D2890052 00014103
	s_and_b32 s82, s82, 0xffffff                               // 000000009BC8: 8652FF52 00FFFFFF
	s_cmp_lt_u32 s82, s66                                      // 000000009BD0: BF0A4252
	s_cselect_b32 s20, s36, s60                                // 000000009BD4: 85143C24
	v_readlane_b32 s82, v3, 33                                 // 000000009BD8: D2890052 00014303
	s_and_b32 s82, s82, 0xffffff                               // 000000009BE0: 8652FF52 00FFFFFF
	s_cmp_lt_u32 s82, s66                                      // 000000009BE8: BF0A4252
	s_cselect_b32 s21, s36, s60                                // 000000009BEC: 85153C24
	s_mov_b64 exec, s[20:21]                                   // 000000009BF0: BEFE0114
	global_atomic_add_f32 v6, v222, s[8:9] offset:8            // 000000009BF4: DD348008 0008DE06
	global_atomic_add_f32 v6, v226, s[8:9] offset:264          // 000000009BFC: DD348108 0008E206
	s_mov_b64 exec, s[36:37]                                   // 000000009C04: BEFE0124
	v_mov_b32_e32 v6, v81                                      // 000000009C08: 7E0C0351
	s_mov_b64 s[60:61], 0                                      // 000000009C0C: BEBC0180
	v_readlane_b32 s82, v3, 34                                 // 000000009C10: D2890052 00014503
	s_and_b32 s82, s82, 0xffffff                               // 000000009C18: 8652FF52 00FFFFFF
	s_cmp_lt_u32 s82, s66                                      // 000000009C20: BF0A4252
	s_cselect_b32 s20, s36, s60                                // 000000009C24: 85143C24
	v_readlane_b32 s82, v3, 35                                 // 000000009C28: D2890052 00014703
	s_and_b32 s82, s82, 0xffffff                               // 000000009C30: 8652FF52 00FFFFFF
	s_cmp_lt_u32 s82, s66                                      // 000000009C38: BF0A4252
	s_cselect_b32 s21, s36, s60                                // 000000009C3C: 85153C24
	s_mov_b64 exec, s[20:21]                                   // 000000009C40: BEFE0114
	global_atomic_add_f32 v6, v223, s[8:9] offset:8            // 000000009C44: DD348008 0008DF06
	global_atomic_add_f32 v6, v227, s[8:9] offset:264          // 000000009C4C: DD348108 0008E306
	s_mov_b64 exec, s[36:37]                                   // 000000009C54: BEFE0124
	s_branch label_3556                                        // 000000009C58: BF8218BC

0000000000009c5c <label_1C9A>:
	s_waitcnt vmcnt(2) lgkmcnt(0)                              // 000000009C5C: BF8C0072
	s_barrier                                                  // 000000009C60: BF8A0000
	v_mfma_f32_16x16x32_fp8_fp8 v[84:87], a[144:145], a[0:1], v[84:87]// 000000009C64: D3F30054 1D520190
	buffer_load_dwordx4 a[160:163], v82, s[84:87], 0 offen     // 000000009C6C: E05C1000 8095A052
	v_mfma_f32_16x16x32_fp8_fp8 v[84:87], a[146:147], a[2:3], v[84:87]// 000000009C74: D3F30054 1D520592
	v_mfma_f32_16x16x32_fp8_fp8 v[84:87], a[148:149], a[4:5], v[84:87]// 000000009C7C: D3F30054 1D520994
	v_mfma_f32_16x16x32_fp8_fp8 v[84:87], a[150:151], a[6:7], v[84:87]// 000000009C84: D3F30054 1D520D96
	v_mfma_f32_16x16x32_fp8_fp8 v[88:91], a[144:145], a[8:9], v[88:91]// 000000009C8C: D3F30058 1D621190
	buffer_load_dwordx4 a[164:167], v82, s[84:87], 0 offen offset:1024// 000000009C94: E05C1400 8095A452
	v_mfma_f32_16x16x32_fp8_fp8 v[88:91], a[146:147], a[10:11], v[88:91]// 000000009C9C: D3F30058 1D621592
	v_mfma_f32_16x16x32_fp8_fp8 v[88:91], a[148:149], a[12:13], v[88:91]// 000000009CA4: D3F30058 1D621994
	v_mfma_f32_16x16x32_fp8_fp8 v[88:91], a[150:151], a[14:15], v[88:91]// 000000009CAC: D3F30058 1D621D96
	v_mfma_f32_16x16x32_fp8_fp8 v[92:95], a[144:145], a[16:17], v[92:95]// 000000009CB4: D3F3005C 1D722190
	buffer_load_dwordx4 a[168:171], v83, s[84:87], 0 offen     // 000000009CBC: E05C1000 8095A853
	v_mfma_f32_16x16x32_fp8_fp8 v[92:95], a[146:147], a[18:19], v[92:95]// 000000009CC4: D3F3005C 1D722592
	v_mfma_f32_16x16x32_fp8_fp8 v[92:95], a[148:149], a[20:21], v[92:95]// 000000009CCC: D3F3005C 1D722994
	v_mfma_f32_16x16x32_fp8_fp8 v[92:95], a[150:151], a[22:23], v[92:95]// 000000009CD4: D3F3005C 1D722D96
	v_mfma_f32_16x16x32_fp8_fp8 v[96:99], a[144:145], a[24:25], v[96:99]// 000000009CDC: D3F30060 1D823190
	buffer_load_dwordx4 a[172:175], v83, s[84:87], 0 offen offset:1024// 000000009CE4: E05C1400 8095AC53
	buffer_load_dword v64, s[20:23], 0 offen lds               // 000000009CEC: E0511000 80050040
	s_add_u32 m0, 0x100, s48                                   // 000000009CF4: 807C30FF 00000100
	v_mfma_f32_16x16x32_fp8_fp8 v[96:99], a[146:147], a[26:27], v[96:99]// 000000009CFC: D3F30060 1D823592
	v_mfma_f32_16x16x32_fp8_fp8 v[96:99], a[148:149], a[28:29], v[96:99]// 000000009D04: D3F30060 1D823994
	buffer_load_dword v65, s[20:23], 0 offen lds               // 000000009D0C: E0511000 80050041
	s_add_u32 m0, 0x200, s48                                   // 000000009D14: 807C30FF 00000200
	v_mfma_f32_16x16x32_fp8_fp8 v[96:99], a[150:151], a[30:31], v[96:99]// 000000009D1C: D3F30060 1D823D96
	v_mfma_f32_16x16x32_fp8_fp8 v[100:103], a[144:145], a[32:33], v[100:103]// 000000009D24: D3F30064 1D924190
	buffer_load_dword v66, s[20:23], 0 offen lds               // 000000009D2C: E0511000 80050042
	s_add_u32 m0, 0x300, s48                                   // 000000009D34: 807C30FF 00000300
	v_mfma_f32_16x16x32_fp8_fp8 v[100:103], a[146:147], a[34:35], v[100:103]// 000000009D3C: D3F30064 1D924592
	v_mfma_f32_16x16x32_fp8_fp8 v[100:103], a[148:149], a[36:37], v[100:103]// 000000009D44: D3F30064 1D924994
	buffer_load_dword v67, s[20:23], 0 offen lds               // 000000009D4C: E0511000 80050043
	s_add_u32 m0, 0x400, s48                                   // 000000009D54: 807C30FF 00000400
	v_mfma_f32_16x16x32_fp8_fp8 v[100:103], a[150:151], a[38:39], v[100:103]// 000000009D5C: D3F30064 1D924D96
	v_mfma_f32_16x16x32_fp8_fp8 v[104:107], a[144:145], a[40:41], v[104:107]// 000000009D64: D3F30068 1DA25190
	buffer_load_dword v68, s[20:23], 0 offen lds               // 000000009D6C: E0511000 80050044
	s_add_u32 m0, 0x500, s48                                   // 000000009D74: 807C30FF 00000500
	v_mfma_f32_16x16x32_fp8_fp8 v[104:107], a[146:147], a[42:43], v[104:107]// 000000009D7C: D3F30068 1DA25592
	v_mfma_f32_16x16x32_fp8_fp8 v[104:107], a[148:149], a[44:45], v[104:107]// 000000009D84: D3F30068 1DA25994
	buffer_load_dword v69, s[20:23], 0 offen lds               // 000000009D8C: E0511000 80050045
	s_add_u32 m0, 0x600, s48                                   // 000000009D94: 807C30FF 00000600
	v_mfma_f32_16x16x32_fp8_fp8 v[104:107], a[150:151], a[46:47], v[104:107]// 000000009D9C: D3F30068 1DA25D96
	v_mfma_f32_16x16x32_fp8_fp8 v[108:111], a[144:145], a[48:49], v[108:111]// 000000009DA4: D3F3006C 1DB26190
	buffer_load_dword v70, s[20:23], 0 offen lds               // 000000009DAC: E0511000 80050046
	s_add_u32 m0, 0x700, s48                                   // 000000009DB4: 807C30FF 00000700
	v_mfma_f32_16x16x32_fp8_fp8 v[108:111], a[146:147], a[50:51], v[108:111]// 000000009DBC: D3F3006C 1DB26592
	v_mfma_f32_16x16x32_fp8_fp8 v[108:111], a[148:149], a[52:53], v[108:111]// 000000009DC4: D3F3006C 1DB26994
	buffer_load_dword v71, s[20:23], 0 offen lds               // 000000009DCC: E0511000 80050047
	s_add_u32 m0, 0x800, s48                                   // 000000009DD4: 807C30FF 00000800
	v_mfma_f32_16x16x32_fp8_fp8 v[108:111], a[150:151], a[54:55], v[108:111]// 000000009DDC: D3F3006C 1DB26D96
	v_mfma_f32_16x16x32_fp8_fp8 v[112:115], a[144:145], a[56:57], v[112:115]// 000000009DE4: D3F30070 1DC27190
	buffer_load_dword v72, s[20:23], 0 offen lds               // 000000009DEC: E0511000 80050048
	s_add_u32 m0, 0x900, s48                                   // 000000009DF4: 807C30FF 00000900
	v_mfma_f32_16x16x32_fp8_fp8 v[112:115], a[146:147], a[58:59], v[112:115]// 000000009DFC: D3F30070 1DC27592
	v_mfma_f32_16x16x32_fp8_fp8 v[112:115], a[148:149], a[60:61], v[112:115]// 000000009E04: D3F30070 1DC27994
	buffer_load_dword v73, s[20:23], 0 offen lds               // 000000009E0C: E0511000 80050049
	s_add_u32 m0, 0xa00, s48                                   // 000000009E14: 807C30FF 00000A00
	v_mfma_f32_16x16x32_fp8_fp8 v[112:115], a[150:151], a[62:63], v[112:115]// 000000009E1C: D3F30070 1DC27D96
	v_mfma_f32_16x16x32_fp8_fp8 v[116:119], a[144:145], a[64:65], v[116:119]// 000000009E24: D3F30074 1DD28190
	buffer_load_dword v74, s[20:23], 0 offen lds               // 000000009E2C: E0511000 8005004A
	s_add_u32 m0, 0xb00, s48                                   // 000000009E34: 807C30FF 00000B00
	v_mfma_f32_16x16x32_fp8_fp8 v[116:119], a[146:147], a[66:67], v[116:119]// 000000009E3C: D3F30074 1DD28592
	v_mfma_f32_16x16x32_fp8_fp8 v[116:119], a[148:149], a[68:69], v[116:119]// 000000009E44: D3F30074 1DD28994
	buffer_load_dword v75, s[20:23], 0 offen lds               // 000000009E4C: E0511000 8005004B
	s_add_u32 m0, 0xc00, s48                                   // 000000009E54: 807C30FF 00000C00
	v_mfma_f32_16x16x32_fp8_fp8 v[116:119], a[150:151], a[70:71], v[116:119]// 000000009E5C: D3F30074 1DD28D96
	s_waitcnt vmcnt(16)                                        // 000000009E64: BF8C4F70
	v_mfma_f32_16x16x32_fp8_fp8 v[120:123], a[152:153], a[0:1], v[120:123]// 000000009E68: D3F30078 1DE20198
	buffer_load_dword v76, s[20:23], 0 offen lds               // 000000009E70: E0511000 8005004C
	s_add_u32 m0, 0xd00, s48                                   // 000000009E78: 807C30FF 00000D00
	v_mfma_f32_16x16x32_fp8_fp8 v[120:123], a[154:155], a[2:3], v[120:123]// 000000009E80: D3F30078 1DE2059A
	v_mfma_f32_16x16x32_fp8_fp8 v[120:123], a[156:157], a[4:5], v[120:123]// 000000009E88: D3F30078 1DE2099C
	buffer_load_dword v77, s[20:23], 0 offen lds               // 000000009E90: E0511000 8005004D
	s_add_u32 m0, 0xe00, s48                                   // 000000009E98: 807C30FF 00000E00
	v_mfma_f32_16x16x32_fp8_fp8 v[120:123], a[158:159], a[6:7], v[120:123]// 000000009EA0: D3F30078 1DE20D9E
	v_mfma_f32_16x16x32_fp8_fp8 v[124:127], a[152:153], a[8:9], v[124:127]// 000000009EA8: D3F3007C 1DF21198
	buffer_load_dword v78, s[20:23], 0 offen lds               // 000000009EB0: E0511000 8005004E
	s_add_u32 m0, 0xf00, s48                                   // 000000009EB8: 807C30FF 00000F00
	v_mfma_f32_16x16x32_fp8_fp8 v[124:127], a[154:155], a[10:11], v[124:127]// 000000009EC0: D3F3007C 1DF2159A
	v_mfma_f32_16x16x32_fp8_fp8 v[124:127], a[156:157], a[12:13], v[124:127]// 000000009EC8: D3F3007C 1DF2199C
	buffer_load_dword v79, s[20:23], 0 offen lds               // 000000009ED0: E0511000 8005004F
	s_add_u32 m0, 0x1000, s48                                  // 000000009ED8: 807C30FF 00001000
	v_mfma_f32_16x16x32_fp8_fp8 v[124:127], a[158:159], a[14:15], v[124:127]// 000000009EE0: D3F3007C 1DF21D9E
	v_mfma_f32_16x16x32_fp8_fp8 v[128:131], a[152:153], a[16:17], v[128:131]// 000000009EE8: D3F30080 1E022198
	buffer_load_dword v80, s[20:23], 0 offen lds               // 000000009EF0: E0511000 80050050
	s_add_u32 m0, 0x1100, s48                                  // 000000009EF8: 807C30FF 00001100
	v_mfma_f32_16x16x32_fp8_fp8 v[128:131], a[154:155], a[18:19], v[128:131]// 000000009F00: D3F30080 1E02259A
	v_mfma_f32_16x16x32_fp8_fp8 v[128:131], a[156:157], a[20:21], v[128:131]// 000000009F08: D3F30080 1E02299C
	buffer_load_dword v81, s[20:23], 0 offen lds               // 000000009F10: E0511000 80050051
	s_add_u32 m0, 0, s49                                       // 000000009F18: 807C3180
	v_mfma_f32_16x16x32_fp8_fp8 v[128:131], a[158:159], a[22:23], v[128:131]// 000000009F1C: D3F30080 1E022D9E
	v_mfma_f32_16x16x32_fp8_fp8 v[132:135], a[152:153], a[24:25], v[132:135]// 000000009F24: D3F30084 1E123198
	v_mfma_f32_16x16x32_fp8_fp8 v[132:135], a[154:155], a[26:27], v[132:135]// 000000009F2C: D3F30084 1E12359A
	v_mfma_f32_16x16x32_fp8_fp8 v[132:135], a[156:157], a[28:29], v[132:135]// 000000009F34: D3F30084 1E12399C
	v_mfma_f32_16x16x32_fp8_fp8 v[132:135], a[158:159], a[30:31], v[132:135]// 000000009F3C: D3F30084 1E123D9E
	v_mfma_f32_16x16x32_fp8_fp8 v[136:139], a[152:153], a[32:33], v[136:139]// 000000009F44: D3F30088 1E224198
	v_mfma_f32_16x16x32_fp8_fp8 v[136:139], a[154:155], a[34:35], v[136:139]// 000000009F4C: D3F30088 1E22459A
	v_mfma_f32_16x16x32_fp8_fp8 v[136:139], a[156:157], a[36:37], v[136:139]// 000000009F54: D3F30088 1E22499C
	v_mfma_f32_16x16x32_fp8_fp8 v[136:139], a[158:159], a[38:39], v[136:139]// 000000009F5C: D3F30088 1E224D9E
	v_mfma_f32_16x16x32_fp8_fp8 v[140:143], a[152:153], a[40:41], v[140:143]// 000000009F64: D3F3008C 1E325198
	v_mfma_f32_16x16x32_fp8_fp8 v[140:143], a[154:155], a[42:43], v[140:143]// 000000009F6C: D3F3008C 1E32559A
	v_mfma_f32_16x16x32_fp8_fp8 v[140:143], a[156:157], a[44:45], v[140:143]// 000000009F74: D3F3008C 1E32599C
	v_mfma_f32_16x16x32_fp8_fp8 v[140:143], a[158:159], a[46:47], v[140:143]// 000000009F7C: D3F3008C 1E325D9E
	v_mfma_f32_16x16x32_fp8_fp8 v[144:147], a[152:153], a[48:49], v[144:147]// 000000009F84: D3F30090 1E426198
	v_mfma_f32_16x16x32_fp8_fp8 v[144:147], a[154:155], a[50:51], v[144:147]// 000000009F8C: D3F30090 1E42659A
	v_mfma_f32_16x16x32_fp8_fp8 v[144:147], a[156:157], a[52:53], v[144:147]// 000000009F94: D3F30090 1E42699C
	v_mfma_f32_16x16x32_fp8_fp8 v[144:147], a[158:159], a[54:55], v[144:147]// 000000009F9C: D3F30090 1E426D9E
	v_mfma_f32_16x16x32_fp8_fp8 v[148:151], a[152:153], a[56:57], v[148:151]// 000000009FA4: D3F30094 1E527198
	v_mfma_f32_16x16x32_fp8_fp8 v[148:151], a[154:155], a[58:59], v[148:151]// 000000009FAC: D3F30094 1E52759A
	v_mfma_f32_16x16x32_fp8_fp8 v[148:151], a[156:157], a[60:61], v[148:151]// 000000009FB4: D3F30094 1E52799C
	v_mfma_f32_16x16x32_fp8_fp8 v[148:151], a[158:159], a[62:63], v[148:151]// 000000009FBC: D3F30094 1E527D9E
	v_mfma_f32_16x16x32_fp8_fp8 v[152:155], a[152:153], a[64:65], v[152:155]// 000000009FC4: D3F30098 1E628198
	v_mfma_f32_16x16x32_fp8_fp8 v[152:155], a[154:155], a[66:67], v[152:155]// 000000009FCC: D3F30098 1E62859A
	s_add_u32 s60, 0x80, s80                                   // 000000009FD4: 803C50FF 00000080
	s_cmp_lt_u32 s60, s81                                      // 000000009FDC: BF0A513C
	s_cselect_b32 s83, s83, 0                                  // 000000009FE0: 85538053
	v_mfma_f32_16x16x32_fp8_fp8 v[152:155], a[156:157], a[68:69], v[152:155]// 000000009FE4: D3F30098 1E62899C
	v_mfma_f32_16x16x32_fp8_fp8 v[152:155], a[158:159], a[70:71], v[152:155]// 000000009FEC: D3F30098 1E628D9E
	s_waitcnt vmcnt(18)                                        // 000000009FF4: BF8C4F72
	v_mfma_f32_16x16x32_fp8_fp8 v[156:159], a[160:161], a[0:1], v[156:159]// 000000009FF8: D3F3009C 1E7201A0
	buffer_load_dwordx4 a[144:147], v82, s[24:27], 0 offen     // 00000000A000: E05C1000 80869052
	v_mfma_f32_16x16x32_fp8_fp8 v[156:159], a[162:163], a[2:3], v[156:159]// 00000000A008: D3F3009C 1E7205A2
	v_mfma_f32_16x16x32_fp8_fp8 v[156:159], a[164:165], a[4:5], v[156:159]// 00000000A010: D3F3009C 1E7209A4
	ds_read_b128 a[72:75], v2 offset:18560                     // 00000000A018: DBFE4880 48000002
	ds_read_b128 a[76:79], v2 offset:18624                     // 00000000A020: DBFE48C0 4C000002
	v_mfma_f32_16x16x32_fp8_fp8 v[156:159], a[166:167], a[6:7], v[156:159]// 00000000A028: D3F3009C 1E720DA6
	v_mfma_f32_16x16x32_fp8_fp8 v[192:195], a[168:169], a[0:1], v[192:195]// 00000000A030: D3F300C0 1F0201A8
	buffer_load_dwordx4 a[148:151], v82, s[24:27], 0 offen offset:1024// 00000000A038: E05C1400 80869452
	v_mfma_f32_16x16x32_fp8_fp8 v[192:195], a[170:171], a[2:3], v[192:195]// 00000000A040: D3F300C0 1F0205AA
	v_mfma_f32_16x16x32_fp8_fp8 v[192:195], a[172:173], a[4:5], v[192:195]// 00000000A048: D3F300C0 1F0209AC
	ds_read_b128 a[80:83], v2 offset:19072                     // 00000000A050: DBFE4A80 50000002
	ds_read_b128 a[84:87], v2 offset:19136                     // 00000000A058: DBFE4AC0 54000002
	v_mfma_f32_16x16x32_fp8_fp8 v[192:195], a[174:175], a[6:7], v[192:195]// 00000000A060: D3F300C0 1F020DAE
	v_mfma_f32_16x16x32_fp8_fp8 v[160:163], a[160:161], a[8:9], v[160:163]// 00000000A068: D3F300A0 1E8211A0
	buffer_load_dwordx4 a[152:155], v83, s[24:27], 0 offen     // 00000000A070: E05C1000 80869853
	v_mfma_f32_16x16x32_fp8_fp8 v[160:163], a[162:163], a[10:11], v[160:163]// 00000000A078: D3F300A0 1E8215A2
	v_mfma_f32_16x16x32_fp8_fp8 v[160:163], a[164:165], a[12:13], v[160:163]// 00000000A080: D3F300A0 1E8219A4
	ds_read_b128 a[88:91], v2 offset:19584                     // 00000000A088: DBFE4C80 58000002
	ds_read_b128 a[92:95], v2 offset:19648                     // 00000000A090: DBFE4CC0 5C000002
	v_mfma_f32_16x16x32_fp8_fp8 v[160:163], a[166:167], a[14:15], v[160:163]// 00000000A098: D3F300A0 1E821DA6
	v_mfma_f32_16x16x32_fp8_fp8 v[196:199], a[168:169], a[8:9], v[196:199]// 00000000A0A0: D3F300C4 1F1211A8
	buffer_load_dwordx4 a[156:159], v83, s[24:27], 0 offen offset:1024// 00000000A0A8: E05C1400 80869C53
	v_mfma_f32_16x16x32_fp8_fp8 v[196:199], a[170:171], a[10:11], v[196:199]// 00000000A0B0: D3F300C4 1F1215AA
	v_mfma_f32_16x16x32_fp8_fp8 v[196:199], a[172:173], a[12:13], v[196:199]// 00000000A0B8: D3F300C4 1F1219AC
	ds_read_b128 a[96:99], v2 offset:20096                     // 00000000A0C0: DBFE4E80 60000002
	ds_read_b128 a[100:103], v2 offset:20160                   // 00000000A0C8: DBFE4EC0 64000002
	v_mfma_f32_16x16x32_fp8_fp8 v[196:199], a[174:175], a[14:15], v[196:199]// 00000000A0D0: D3F300C4 1F121DAE
	v_mfma_f32_16x16x32_fp8_fp8 v[164:167], a[160:161], a[16:17], v[164:167]// 00000000A0D8: D3F300A4 1E9221A0
	v_mfma_f32_16x16x32_fp8_fp8 v[164:167], a[162:163], a[18:19], v[164:167]// 00000000A0E0: D3F300A4 1E9225A2
	v_mfma_f32_16x16x32_fp8_fp8 v[164:167], a[164:165], a[20:21], v[164:167]// 00000000A0E8: D3F300A4 1E9229A4
	ds_read_b128 a[104:107], v2 offset:20608                   // 00000000A0F0: DBFE5080 68000002
	ds_read_b128 a[108:111], v2 offset:20672                   // 00000000A0F8: DBFE50C0 6C000002
	v_mfma_f32_16x16x32_fp8_fp8 v[164:167], a[166:167], a[22:23], v[164:167]// 00000000A100: D3F300A4 1E922DA6
	v_mfma_f32_16x16x32_fp8_fp8 v[200:203], a[168:169], a[16:17], v[200:203]// 00000000A108: D3F300C8 1F2221A8
	v_mfma_f32_16x16x32_fp8_fp8 v[200:203], a[170:171], a[18:19], v[200:203]// 00000000A110: D3F300C8 1F2225AA
	v_mfma_f32_16x16x32_fp8_fp8 v[200:203], a[172:173], a[20:21], v[200:203]// 00000000A118: D3F300C8 1F2229AC
	ds_read_b128 a[112:115], v2 offset:21120                   // 00000000A120: DBFE5280 70000002
	ds_read_b128 a[116:119], v2 offset:21184                   // 00000000A128: DBFE52C0 74000002
	v_mfma_f32_16x16x32_fp8_fp8 v[200:203], a[174:175], a[22:23], v[200:203]// 00000000A130: D3F300C8 1F222DAE
	v_mfma_f32_16x16x32_fp8_fp8 v[168:171], a[160:161], a[24:25], v[168:171]// 00000000A138: D3F300A8 1EA231A0
	v_mfma_f32_16x16x32_fp8_fp8 v[168:171], a[162:163], a[26:27], v[168:171]// 00000000A140: D3F300A8 1EA235A2
	v_mfma_f32_16x16x32_fp8_fp8 v[168:171], a[164:165], a[28:29], v[168:171]// 00000000A148: D3F300A8 1EA239A4
	ds_read_b128 a[120:123], v2 offset:21632                   // 00000000A150: DBFE5480 78000002
	ds_read_b128 a[124:127], v2 offset:21696                   // 00000000A158: DBFE54C0 7C000002
	v_mfma_f32_16x16x32_fp8_fp8 v[168:171], a[166:167], a[30:31], v[168:171]// 00000000A160: D3F300A8 1EA23DA6
	v_mfma_f32_16x16x32_fp8_fp8 v[204:207], a[168:169], a[24:25], v[204:207]// 00000000A168: D3F300CC 1F3231A8
	v_mfma_f32_16x16x32_fp8_fp8 v[204:207], a[170:171], a[26:27], v[204:207]// 00000000A170: D3F300CC 1F3235AA
	v_mfma_f32_16x16x32_fp8_fp8 v[204:207], a[172:173], a[28:29], v[204:207]// 00000000A178: D3F300CC 1F3239AC
	ds_read_b128 a[128:131], v2 offset:22144                   // 00000000A180: DBFE5680 80000002
	ds_read_b128 a[132:135], v2 offset:22208                   // 00000000A188: DBFE56C0 84000002
	v_mfma_f32_16x16x32_fp8_fp8 v[204:207], a[174:175], a[30:31], v[204:207]// 00000000A190: D3F300CC 1F323DAE
	v_mfma_f32_16x16x32_fp8_fp8 v[172:175], a[160:161], a[32:33], v[172:175]// 00000000A198: D3F300AC 1EB241A0
	v_mfma_f32_16x16x32_fp8_fp8 v[172:175], a[162:163], a[34:35], v[172:175]// 00000000A1A0: D3F300AC 1EB245A2
	v_mfma_f32_16x16x32_fp8_fp8 v[172:175], a[164:165], a[36:37], v[172:175]// 00000000A1A8: D3F300AC 1EB249A4
	ds_read_b128 a[136:139], v2 offset:22656                   // 00000000A1B0: DBFE5880 88000002
	ds_read_b128 a[140:143], v2 offset:22720                   // 00000000A1B8: DBFE58C0 8C000002
	v_mfma_f32_16x16x32_fp8_fp8 v[172:175], a[166:167], a[38:39], v[172:175]// 00000000A1C0: D3F300AC 1EB24DA6
	v_mfma_f32_16x16x32_fp8_fp8 v[208:211], a[168:169], a[32:33], v[208:211]// 00000000A1C8: D3F300D0 1F4241A8
	v_mfma_f32_16x16x32_fp8_fp8 v[208:211], a[170:171], a[34:35], v[208:211]// 00000000A1D0: D3F300D0 1F4245AA
	v_mfma_f32_16x16x32_fp8_fp8 v[208:211], a[172:173], a[36:37], v[208:211]// 00000000A1D8: D3F300D0 1F4249AC
	v_mfma_f32_16x16x32_fp8_fp8 v[208:211], a[174:175], a[38:39], v[208:211]// 00000000A1E0: D3F300D0 1F424DAE
	v_mfma_f32_16x16x32_fp8_fp8 v[176:179], a[160:161], a[40:41], v[176:179]// 00000000A1E8: D3F300B0 1EC251A0
	v_mfma_f32_16x16x32_fp8_fp8 v[176:179], a[162:163], a[42:43], v[176:179]// 00000000A1F0: D3F300B0 1EC255A2
	v_mfma_f32_16x16x32_fp8_fp8 v[176:179], a[164:165], a[44:45], v[176:179]// 00000000A1F8: D3F300B0 1EC259A4
	v_mfma_f32_16x16x32_fp8_fp8 v[176:179], a[166:167], a[46:47], v[176:179]// 00000000A200: D3F300B0 1EC25DA6
	v_mfma_f32_16x16x32_fp8_fp8 v[212:215], a[168:169], a[40:41], v[212:215]// 00000000A208: D3F300D4 1F5251A8
	v_mfma_f32_16x16x32_fp8_fp8 v[212:215], a[170:171], a[42:43], v[212:215]// 00000000A210: D3F300D4 1F5255AA
	v_mfma_f32_16x16x32_fp8_fp8 v[212:215], a[172:173], a[44:45], v[212:215]// 00000000A218: D3F300D4 1F5259AC
	v_mfma_f32_16x16x32_fp8_fp8 v[212:215], a[174:175], a[46:47], v[212:215]// 00000000A220: D3F300D4 1F525DAE
	v_mfma_f32_16x16x32_fp8_fp8 v[180:183], a[160:161], a[48:49], v[180:183]// 00000000A228: D3F300B4 1ED261A0
	v_mfma_f32_16x16x32_fp8_fp8 v[180:183], a[162:163], a[50:51], v[180:183]// 00000000A230: D3F300B4 1ED265A2
	v_mfma_f32_16x16x32_fp8_fp8 v[180:183], a[164:165], a[52:53], v[180:183]// 00000000A238: D3F300B4 1ED269A4
	v_mfma_f32_16x16x32_fp8_fp8 v[180:183], a[166:167], a[54:55], v[180:183]// 00000000A240: D3F300B4 1ED26DA6
	v_mfma_f32_16x16x32_fp8_fp8 v[216:219], a[168:169], a[48:49], v[216:219]// 00000000A248: D3F300D8 1F6261A8
	v_mfma_f32_16x16x32_fp8_fp8 v[216:219], a[170:171], a[50:51], v[216:219]// 00000000A250: D3F300D8 1F6265AA
	v_mfma_f32_16x16x32_fp8_fp8 v[216:219], a[172:173], a[52:53], v[216:219]// 00000000A258: D3F300D8 1F6269AC
	v_mfma_f32_16x16x32_fp8_fp8 v[216:219], a[174:175], a[54:55], v[216:219]// 00000000A260: D3F300D8 1F626DAE
	v_mfma_f32_16x16x32_fp8_fp8 v[184:187], a[160:161], a[56:57], v[184:187]// 00000000A268: D3F300B8 1EE271A0
	v_mfma_f32_16x16x32_fp8_fp8 v[184:187], a[162:163], a[58:59], v[184:187]// 00000000A270: D3F300B8 1EE275A2
	v_mfma_f32_16x16x32_fp8_fp8 v[184:187], a[164:165], a[60:61], v[184:187]// 00000000A278: D3F300B8 1EE279A4
	v_mfma_f32_16x16x32_fp8_fp8 v[184:187], a[166:167], a[62:63], v[184:187]// 00000000A280: D3F300B8 1EE27DA6
	v_mfma_f32_16x16x32_fp8_fp8 v[220:223], a[168:169], a[56:57], v[220:223]// 00000000A288: D3F300DC 1F7271A8
	v_mfma_f32_16x16x32_fp8_fp8 v[220:223], a[170:171], a[58:59], v[220:223]// 00000000A290: D3F300DC 1F7275AA
	v_mfma_f32_16x16x32_fp8_fp8 v[220:223], a[172:173], a[60:61], v[220:223]// 00000000A298: D3F300DC 1F7279AC
	v_mfma_f32_16x16x32_fp8_fp8 v[220:223], a[174:175], a[62:63], v[220:223]// 00000000A2A0: D3F300DC 1F727DAE
	v_mfma_f32_16x16x32_fp8_fp8 v[188:191], a[160:161], a[64:65], v[188:191]// 00000000A2A8: D3F300BC 1EF281A0
	v_mfma_f32_16x16x32_fp8_fp8 v[188:191], a[162:163], a[66:67], v[188:191]// 00000000A2B0: D3F300BC 1EF285A2
	v_mfma_f32_16x16x32_fp8_fp8 v[188:191], a[164:165], a[68:69], v[188:191]// 00000000A2B8: D3F300BC 1EF289A4
	s_add_u32 s60, 0x180, s80                                  // 00000000A2C0: 803C50FF 00000180
	s_cmp_lt_u32 s60, s81                                      // 00000000A2C8: BF0A513C
	s_cselect_b32 s57, s57, 0                                  // 00000000A2CC: 85398039
	v_mfma_f32_16x16x32_fp8_fp8 v[188:191], a[166:167], a[70:71], v[188:191]// 00000000A2D0: D3F300BC 1EF28DA6
	s_add_u32 s60, 0x100, s80                                  // 00000000A2D8: 803C50FF 00000100
	s_cmp_lt_u32 s60, s81                                      // 00000000A2E0: BF0A513C
	s_cselect_b32 s58, s58, 0                                  // 00000000A2E4: 853A803A
	v_mfma_f32_16x16x32_fp8_fp8 v[224:227], a[168:169], a[64:65], v[224:227]// 00000000A2E8: D3F300E0 1F8281A8
	s_add_u32 s24, s58, s24                                    // 00000000A2F0: 8018183A
	s_addc_u32 s25, 0, s25                                     // 00000000A2F4: 82191980
	v_mfma_f32_16x16x32_fp8_fp8 v[224:227], a[170:171], a[66:67], v[224:227]// 00000000A2F8: D3F300E0 1F8285AA
	s_add_u32 s20, s57, s20                                    // 00000000A300: 80141439
	s_addc_u32 s21, 0, s21                                     // 00000000A304: 82151580
	v_mfma_f32_16x16x32_fp8_fp8 v[224:227], a[172:173], a[68:69], v[224:227]// 00000000A308: D3F300E0 1F8289AC
	s_add_u32 s84, s83, s84                                    // 00000000A310: 80545453
	s_addc_u32 s85, 0, s85                                     // 00000000A314: 82555580
	v_mfma_f32_16x16x32_fp8_fp8 v[224:227], a[174:175], a[70:71], v[224:227]// 00000000A318: D3F300E0 1F828DAE
	s_addk_i32 s80, 0x80                                       // 00000000A320: B7500080
	s_cmp_lt_i32 s80, s81                                      // 00000000A324: BF045150
	s_cbranch_scc0 label_2003                                  // 00000000A328: BF8401B5
	s_waitcnt vmcnt(2) lgkmcnt(0)                              // 00000000A32C: BF8C0072
	s_barrier                                                  // 00000000A330: BF8A0000
	v_mfma_f32_16x16x32_fp8_fp8 v[84:87], a[144:145], a[72:73], v[84:87]// 00000000A334: D3F30054 1D529190
	buffer_load_dwordx4 a[160:163], v82, s[84:87], 0 offen     // 00000000A33C: E05C1000 8095A052
	v_mfma_f32_16x16x32_fp8_fp8 v[84:87], a[146:147], a[74:75], v[84:87]// 00000000A344: D3F30054 1D529592
	v_mfma_f32_16x16x32_fp8_fp8 v[84:87], a[148:149], a[76:77], v[84:87]// 00000000A34C: D3F30054 1D529994
	v_mfma_f32_16x16x32_fp8_fp8 v[84:87], a[150:151], a[78:79], v[84:87]// 00000000A354: D3F30054 1D529D96
	v_mfma_f32_16x16x32_fp8_fp8 v[88:91], a[144:145], a[80:81], v[88:91]// 00000000A35C: D3F30058 1D62A190
	buffer_load_dwordx4 a[164:167], v82, s[84:87], 0 offen offset:1024// 00000000A364: E05C1400 8095A452
	v_mfma_f32_16x16x32_fp8_fp8 v[88:91], a[146:147], a[82:83], v[88:91]// 00000000A36C: D3F30058 1D62A592
	v_mfma_f32_16x16x32_fp8_fp8 v[88:91], a[148:149], a[84:85], v[88:91]// 00000000A374: D3F30058 1D62A994
	v_mfma_f32_16x16x32_fp8_fp8 v[88:91], a[150:151], a[86:87], v[88:91]// 00000000A37C: D3F30058 1D62AD96
	v_mfma_f32_16x16x32_fp8_fp8 v[92:95], a[144:145], a[88:89], v[92:95]// 00000000A384: D3F3005C 1D72B190
	buffer_load_dwordx4 a[168:171], v83, s[84:87], 0 offen     // 00000000A38C: E05C1000 8095A853
	v_mfma_f32_16x16x32_fp8_fp8 v[92:95], a[146:147], a[90:91], v[92:95]// 00000000A394: D3F3005C 1D72B592
	v_mfma_f32_16x16x32_fp8_fp8 v[92:95], a[148:149], a[92:93], v[92:95]// 00000000A39C: D3F3005C 1D72B994
	v_mfma_f32_16x16x32_fp8_fp8 v[92:95], a[150:151], a[94:95], v[92:95]// 00000000A3A4: D3F3005C 1D72BD96
	v_mfma_f32_16x16x32_fp8_fp8 v[96:99], a[144:145], a[96:97], v[96:99]// 00000000A3AC: D3F30060 1D82C190
	buffer_load_dwordx4 a[172:175], v83, s[84:87], 0 offen offset:1024// 00000000A3B4: E05C1400 8095AC53
	buffer_load_dword v64, s[20:23], 0 offen lds               // 00000000A3BC: E0511000 80050040
	s_add_u32 m0, 0x100, s49                                   // 00000000A3C4: 807C31FF 00000100
	v_mfma_f32_16x16x32_fp8_fp8 v[96:99], a[146:147], a[98:99], v[96:99]// 00000000A3CC: D3F30060 1D82C592
	v_mfma_f32_16x16x32_fp8_fp8 v[96:99], a[148:149], a[100:101], v[96:99]// 00000000A3D4: D3F30060 1D82C994
	buffer_load_dword v65, s[20:23], 0 offen lds               // 00000000A3DC: E0511000 80050041
	s_add_u32 m0, 0x200, s49                                   // 00000000A3E4: 807C31FF 00000200
	v_mfma_f32_16x16x32_fp8_fp8 v[96:99], a[150:151], a[102:103], v[96:99]// 00000000A3EC: D3F30060 1D82CD96
	v_mfma_f32_16x16x32_fp8_fp8 v[100:103], a[144:145], a[104:105], v[100:103]// 00000000A3F4: D3F30064 1D92D190
	buffer_load_dword v66, s[20:23], 0 offen lds               // 00000000A3FC: E0511000 80050042
	s_add_u32 m0, 0x300, s49                                   // 00000000A404: 807C31FF 00000300
	v_mfma_f32_16x16x32_fp8_fp8 v[100:103], a[146:147], a[106:107], v[100:103]// 00000000A40C: D3F30064 1D92D592
	v_mfma_f32_16x16x32_fp8_fp8 v[100:103], a[148:149], a[108:109], v[100:103]// 00000000A414: D3F30064 1D92D994
	buffer_load_dword v67, s[20:23], 0 offen lds               // 00000000A41C: E0511000 80050043
	s_add_u32 m0, 0x400, s49                                   // 00000000A424: 807C31FF 00000400
	v_mfma_f32_16x16x32_fp8_fp8 v[100:103], a[150:151], a[110:111], v[100:103]// 00000000A42C: D3F30064 1D92DD96
	v_mfma_f32_16x16x32_fp8_fp8 v[104:107], a[144:145], a[112:113], v[104:107]// 00000000A434: D3F30068 1DA2E190
	buffer_load_dword v68, s[20:23], 0 offen lds               // 00000000A43C: E0511000 80050044
	s_add_u32 m0, 0x500, s49                                   // 00000000A444: 807C31FF 00000500
	v_mfma_f32_16x16x32_fp8_fp8 v[104:107], a[146:147], a[114:115], v[104:107]// 00000000A44C: D3F30068 1DA2E592
	v_mfma_f32_16x16x32_fp8_fp8 v[104:107], a[148:149], a[116:117], v[104:107]// 00000000A454: D3F30068 1DA2E994
	buffer_load_dword v69, s[20:23], 0 offen lds               // 00000000A45C: E0511000 80050045
	s_add_u32 m0, 0x600, s49                                   // 00000000A464: 807C31FF 00000600
	v_mfma_f32_16x16x32_fp8_fp8 v[104:107], a[150:151], a[118:119], v[104:107]// 00000000A46C: D3F30068 1DA2ED96
	v_mfma_f32_16x16x32_fp8_fp8 v[108:111], a[144:145], a[120:121], v[108:111]// 00000000A474: D3F3006C 1DB2F190
	buffer_load_dword v70, s[20:23], 0 offen lds               // 00000000A47C: E0511000 80050046
	s_add_u32 m0, 0x700, s49                                   // 00000000A484: 807C31FF 00000700
	v_mfma_f32_16x16x32_fp8_fp8 v[108:111], a[146:147], a[122:123], v[108:111]// 00000000A48C: D3F3006C 1DB2F592
	v_mfma_f32_16x16x32_fp8_fp8 v[108:111], a[148:149], a[124:125], v[108:111]// 00000000A494: D3F3006C 1DB2F994
	buffer_load_dword v71, s[20:23], 0 offen lds               // 00000000A49C: E0511000 80050047
	s_add_u32 m0, 0x800, s49                                   // 00000000A4A4: 807C31FF 00000800
	v_mfma_f32_16x16x32_fp8_fp8 v[108:111], a[150:151], a[126:127], v[108:111]// 00000000A4AC: D3F3006C 1DB2FD96
	v_mfma_f32_16x16x32_fp8_fp8 v[112:115], a[144:145], a[128:129], v[112:115]// 00000000A4B4: D3F30070 1DC30190
	buffer_load_dword v72, s[20:23], 0 offen lds               // 00000000A4BC: E0511000 80050048
	s_add_u32 m0, 0x900, s49                                   // 00000000A4C4: 807C31FF 00000900
	v_mfma_f32_16x16x32_fp8_fp8 v[112:115], a[146:147], a[130:131], v[112:115]// 00000000A4CC: D3F30070 1DC30592
	v_mfma_f32_16x16x32_fp8_fp8 v[112:115], a[148:149], a[132:133], v[112:115]// 00000000A4D4: D3F30070 1DC30994
	buffer_load_dword v73, s[20:23], 0 offen lds               // 00000000A4DC: E0511000 80050049
	s_add_u32 m0, 0xa00, s49                                   // 00000000A4E4: 807C31FF 00000A00
	v_mfma_f32_16x16x32_fp8_fp8 v[112:115], a[150:151], a[134:135], v[112:115]// 00000000A4EC: D3F30070 1DC30D96
	v_mfma_f32_16x16x32_fp8_fp8 v[116:119], a[144:145], a[136:137], v[116:119]// 00000000A4F4: D3F30074 1DD31190
	buffer_load_dword v74, s[20:23], 0 offen lds               // 00000000A4FC: E0511000 8005004A
	s_add_u32 m0, 0xb00, s49                                   // 00000000A504: 807C31FF 00000B00
	v_mfma_f32_16x16x32_fp8_fp8 v[116:119], a[146:147], a[138:139], v[116:119]// 00000000A50C: D3F30074 1DD31592
	v_mfma_f32_16x16x32_fp8_fp8 v[116:119], a[148:149], a[140:141], v[116:119]// 00000000A514: D3F30074 1DD31994
	buffer_load_dword v75, s[20:23], 0 offen lds               // 00000000A51C: E0511000 8005004B
	s_add_u32 m0, 0xc00, s49                                   // 00000000A524: 807C31FF 00000C00
	v_mfma_f32_16x16x32_fp8_fp8 v[116:119], a[150:151], a[142:143], v[116:119]// 00000000A52C: D3F30074 1DD31D96
	s_waitcnt vmcnt(16)                                        // 00000000A534: BF8C4F70
	v_mfma_f32_16x16x32_fp8_fp8 v[120:123], a[152:153], a[72:73], v[120:123]// 00000000A538: D3F30078 1DE29198
	buffer_load_dword v76, s[20:23], 0 offen lds               // 00000000A540: E0511000 8005004C
	s_add_u32 m0, 0xd00, s49                                   // 00000000A548: 807C31FF 00000D00
	v_mfma_f32_16x16x32_fp8_fp8 v[120:123], a[154:155], a[74:75], v[120:123]// 00000000A550: D3F30078 1DE2959A
	v_mfma_f32_16x16x32_fp8_fp8 v[120:123], a[156:157], a[76:77], v[120:123]// 00000000A558: D3F30078 1DE2999C
	buffer_load_dword v77, s[20:23], 0 offen lds               // 00000000A560: E0511000 8005004D
	s_add_u32 m0, 0xe00, s49                                   // 00000000A568: 807C31FF 00000E00
	v_mfma_f32_16x16x32_fp8_fp8 v[120:123], a[158:159], a[78:79], v[120:123]// 00000000A570: D3F30078 1DE29D9E
	v_mfma_f32_16x16x32_fp8_fp8 v[124:127], a[152:153], a[80:81], v[124:127]// 00000000A578: D3F3007C 1DF2A198
	buffer_load_dword v78, s[20:23], 0 offen lds               // 00000000A580: E0511000 8005004E
	s_add_u32 m0, 0xf00, s49                                   // 00000000A588: 807C31FF 00000F00
	v_mfma_f32_16x16x32_fp8_fp8 v[124:127], a[154:155], a[82:83], v[124:127]// 00000000A590: D3F3007C 1DF2A59A
	v_mfma_f32_16x16x32_fp8_fp8 v[124:127], a[156:157], a[84:85], v[124:127]// 00000000A598: D3F3007C 1DF2A99C
	buffer_load_dword v79, s[20:23], 0 offen lds               // 00000000A5A0: E0511000 8005004F
	s_add_u32 m0, 0x1000, s49                                  // 00000000A5A8: 807C31FF 00001000
	v_mfma_f32_16x16x32_fp8_fp8 v[124:127], a[158:159], a[86:87], v[124:127]// 00000000A5B0: D3F3007C 1DF2AD9E
	v_mfma_f32_16x16x32_fp8_fp8 v[128:131], a[152:153], a[88:89], v[128:131]// 00000000A5B8: D3F30080 1E02B198
	buffer_load_dword v80, s[20:23], 0 offen lds               // 00000000A5C0: E0511000 80050050
	s_add_u32 m0, 0x1100, s49                                  // 00000000A5C8: 807C31FF 00001100
	v_mfma_f32_16x16x32_fp8_fp8 v[128:131], a[154:155], a[90:91], v[128:131]// 00000000A5D0: D3F30080 1E02B59A
	v_mfma_f32_16x16x32_fp8_fp8 v[128:131], a[156:157], a[92:93], v[128:131]// 00000000A5D8: D3F30080 1E02B99C
	buffer_load_dword v81, s[20:23], 0 offen lds               // 00000000A5E0: E0511000 80050051
	s_add_u32 m0, 0, s48                                       // 00000000A5E8: 807C3080
	v_mfma_f32_16x16x32_fp8_fp8 v[128:131], a[158:159], a[94:95], v[128:131]// 00000000A5EC: D3F30080 1E02BD9E
	v_mfma_f32_16x16x32_fp8_fp8 v[132:135], a[152:153], a[96:97], v[132:135]// 00000000A5F4: D3F30084 1E12C198
	v_mfma_f32_16x16x32_fp8_fp8 v[132:135], a[154:155], a[98:99], v[132:135]// 00000000A5FC: D3F30084 1E12C59A
	v_mfma_f32_16x16x32_fp8_fp8 v[132:135], a[156:157], a[100:101], v[132:135]// 00000000A604: D3F30084 1E12C99C
	v_mfma_f32_16x16x32_fp8_fp8 v[132:135], a[158:159], a[102:103], v[132:135]// 00000000A60C: D3F30084 1E12CD9E
	v_mfma_f32_16x16x32_fp8_fp8 v[136:139], a[152:153], a[104:105], v[136:139]// 00000000A614: D3F30088 1E22D198
	v_mfma_f32_16x16x32_fp8_fp8 v[136:139], a[154:155], a[106:107], v[136:139]// 00000000A61C: D3F30088 1E22D59A
	v_mfma_f32_16x16x32_fp8_fp8 v[136:139], a[156:157], a[108:109], v[136:139]// 00000000A624: D3F30088 1E22D99C
	v_mfma_f32_16x16x32_fp8_fp8 v[136:139], a[158:159], a[110:111], v[136:139]// 00000000A62C: D3F30088 1E22DD9E
	v_mfma_f32_16x16x32_fp8_fp8 v[140:143], a[152:153], a[112:113], v[140:143]// 00000000A634: D3F3008C 1E32E198
	v_mfma_f32_16x16x32_fp8_fp8 v[140:143], a[154:155], a[114:115], v[140:143]// 00000000A63C: D3F3008C 1E32E59A
	v_mfma_f32_16x16x32_fp8_fp8 v[140:143], a[156:157], a[116:117], v[140:143]// 00000000A644: D3F3008C 1E32E99C
	v_mfma_f32_16x16x32_fp8_fp8 v[140:143], a[158:159], a[118:119], v[140:143]// 00000000A64C: D3F3008C 1E32ED9E
	v_mfma_f32_16x16x32_fp8_fp8 v[144:147], a[152:153], a[120:121], v[144:147]// 00000000A654: D3F30090 1E42F198
	v_mfma_f32_16x16x32_fp8_fp8 v[144:147], a[154:155], a[122:123], v[144:147]// 00000000A65C: D3F30090 1E42F59A
	v_mfma_f32_16x16x32_fp8_fp8 v[144:147], a[156:157], a[124:125], v[144:147]// 00000000A664: D3F30090 1E42F99C
	v_mfma_f32_16x16x32_fp8_fp8 v[144:147], a[158:159], a[126:127], v[144:147]// 00000000A66C: D3F30090 1E42FD9E
	v_mfma_f32_16x16x32_fp8_fp8 v[148:151], a[152:153], a[128:129], v[148:151]// 00000000A674: D3F30094 1E530198
	v_mfma_f32_16x16x32_fp8_fp8 v[148:151], a[154:155], a[130:131], v[148:151]// 00000000A67C: D3F30094 1E53059A
	v_mfma_f32_16x16x32_fp8_fp8 v[148:151], a[156:157], a[132:133], v[148:151]// 00000000A684: D3F30094 1E53099C
	v_mfma_f32_16x16x32_fp8_fp8 v[148:151], a[158:159], a[134:135], v[148:151]// 00000000A68C: D3F30094 1E530D9E
	v_mfma_f32_16x16x32_fp8_fp8 v[152:155], a[152:153], a[136:137], v[152:155]// 00000000A694: D3F30098 1E631198
	v_mfma_f32_16x16x32_fp8_fp8 v[152:155], a[154:155], a[138:139], v[152:155]// 00000000A69C: D3F30098 1E63159A
	s_add_u32 s60, 0x80, s80                                   // 00000000A6A4: 803C50FF 00000080
	s_cmp_lt_u32 s60, s81                                      // 00000000A6AC: BF0A513C
	s_cselect_b32 s83, s83, 0                                  // 00000000A6B0: 85538053
	v_mfma_f32_16x16x32_fp8_fp8 v[152:155], a[156:157], a[140:141], v[152:155]// 00000000A6B4: D3F30098 1E63199C
	v_mfma_f32_16x16x32_fp8_fp8 v[152:155], a[158:159], a[142:143], v[152:155]// 00000000A6BC: D3F30098 1E631D9E
	s_waitcnt vmcnt(18)                                        // 00000000A6C4: BF8C4F72
	v_mfma_f32_16x16x32_fp8_fp8 v[156:159], a[160:161], a[72:73], v[156:159]// 00000000A6C8: D3F3009C 1E7291A0
	buffer_load_dwordx4 a[144:147], v82, s[24:27], 0 offen     // 00000000A6D0: E05C1000 80869052
	v_mfma_f32_16x16x32_fp8_fp8 v[156:159], a[162:163], a[74:75], v[156:159]// 00000000A6D8: D3F3009C 1E7295A2
	v_mfma_f32_16x16x32_fp8_fp8 v[156:159], a[164:165], a[76:77], v[156:159]// 00000000A6E0: D3F3009C 1E7299A4
	ds_read_b128 a[0:3], v2                                    // 00000000A6E8: DBFE0000 00000002
	ds_read_b128 a[4:7], v2 offset:64                          // 00000000A6F0: DBFE0040 04000002
	v_mfma_f32_16x16x32_fp8_fp8 v[156:159], a[166:167], a[78:79], v[156:159]// 00000000A6F8: D3F3009C 1E729DA6
	v_mfma_f32_16x16x32_fp8_fp8 v[192:195], a[168:169], a[72:73], v[192:195]// 00000000A700: D3F300C0 1F0291A8
	buffer_load_dwordx4 a[148:151], v82, s[24:27], 0 offen offset:1024// 00000000A708: E05C1400 80869452
	v_mfma_f32_16x16x32_fp8_fp8 v[192:195], a[170:171], a[74:75], v[192:195]// 00000000A710: D3F300C0 1F0295AA
	v_mfma_f32_16x16x32_fp8_fp8 v[192:195], a[172:173], a[76:77], v[192:195]// 00000000A718: D3F300C0 1F0299AC
	ds_read_b128 a[8:11], v2 offset:512                        // 00000000A720: DBFE0200 08000002
	ds_read_b128 a[12:15], v2 offset:576                       // 00000000A728: DBFE0240 0C000002
	v_mfma_f32_16x16x32_fp8_fp8 v[192:195], a[174:175], a[78:79], v[192:195]// 00000000A730: D3F300C0 1F029DAE
	v_mfma_f32_16x16x32_fp8_fp8 v[160:163], a[160:161], a[80:81], v[160:163]// 00000000A738: D3F300A0 1E82A1A0
	buffer_load_dwordx4 a[152:155], v83, s[24:27], 0 offen     // 00000000A740: E05C1000 80869853
	v_mfma_f32_16x16x32_fp8_fp8 v[160:163], a[162:163], a[82:83], v[160:163]// 00000000A748: D3F300A0 1E82A5A2
	v_mfma_f32_16x16x32_fp8_fp8 v[160:163], a[164:165], a[84:85], v[160:163]// 00000000A750: D3F300A0 1E82A9A4
	ds_read_b128 a[16:19], v2 offset:1024                      // 00000000A758: DBFE0400 10000002
	ds_read_b128 a[20:23], v2 offset:1088                      // 00000000A760: DBFE0440 14000002
	v_mfma_f32_16x16x32_fp8_fp8 v[160:163], a[166:167], a[86:87], v[160:163]// 00000000A768: D3F300A0 1E82ADA6
	v_mfma_f32_16x16x32_fp8_fp8 v[196:199], a[168:169], a[80:81], v[196:199]// 00000000A770: D3F300C4 1F12A1A8
	buffer_load_dwordx4 a[156:159], v83, s[24:27], 0 offen offset:1024// 00000000A778: E05C1400 80869C53
	v_mfma_f32_16x16x32_fp8_fp8 v[196:199], a[170:171], a[82:83], v[196:199]// 00000000A780: D3F300C4 1F12A5AA
	v_mfma_f32_16x16x32_fp8_fp8 v[196:199], a[172:173], a[84:85], v[196:199]// 00000000A788: D3F300C4 1F12A9AC
	ds_read_b128 a[24:27], v2 offset:1536                      // 00000000A790: DBFE0600 18000002
	ds_read_b128 a[28:31], v2 offset:1600                      // 00000000A798: DBFE0640 1C000002
	v_mfma_f32_16x16x32_fp8_fp8 v[196:199], a[174:175], a[86:87], v[196:199]// 00000000A7A0: D3F300C4 1F12ADAE
	v_mfma_f32_16x16x32_fp8_fp8 v[164:167], a[160:161], a[88:89], v[164:167]// 00000000A7A8: D3F300A4 1E92B1A0
	v_mfma_f32_16x16x32_fp8_fp8 v[164:167], a[162:163], a[90:91], v[164:167]// 00000000A7B0: D3F300A4 1E92B5A2
	v_mfma_f32_16x16x32_fp8_fp8 v[164:167], a[164:165], a[92:93], v[164:167]// 00000000A7B8: D3F300A4 1E92B9A4
	ds_read_b128 a[32:35], v2 offset:2048                      // 00000000A7C0: DBFE0800 20000002
	ds_read_b128 a[36:39], v2 offset:2112                      // 00000000A7C8: DBFE0840 24000002
	v_mfma_f32_16x16x32_fp8_fp8 v[164:167], a[166:167], a[94:95], v[164:167]// 00000000A7D0: D3F300A4 1E92BDA6
	v_mfma_f32_16x16x32_fp8_fp8 v[200:203], a[168:169], a[88:89], v[200:203]// 00000000A7D8: D3F300C8 1F22B1A8
	v_mfma_f32_16x16x32_fp8_fp8 v[200:203], a[170:171], a[90:91], v[200:203]// 00000000A7E0: D3F300C8 1F22B5AA
	v_mfma_f32_16x16x32_fp8_fp8 v[200:203], a[172:173], a[92:93], v[200:203]// 00000000A7E8: D3F300C8 1F22B9AC
	ds_read_b128 a[40:43], v2 offset:2560                      // 00000000A7F0: DBFE0A00 28000002
	ds_read_b128 a[44:47], v2 offset:2624                      // 00000000A7F8: DBFE0A40 2C000002
	v_mfma_f32_16x16x32_fp8_fp8 v[200:203], a[174:175], a[94:95], v[200:203]// 00000000A800: D3F300C8 1F22BDAE
	v_mfma_f32_16x16x32_fp8_fp8 v[168:171], a[160:161], a[96:97], v[168:171]// 00000000A808: D3F300A8 1EA2C1A0
	v_mfma_f32_16x16x32_fp8_fp8 v[168:171], a[162:163], a[98:99], v[168:171]// 00000000A810: D3F300A8 1EA2C5A2
	v_mfma_f32_16x16x32_fp8_fp8 v[168:171], a[164:165], a[100:101], v[168:171]// 00000000A818: D3F300A8 1EA2C9A4
	ds_read_b128 a[48:51], v2 offset:3072                      // 00000000A820: DBFE0C00 30000002
	ds_read_b128 a[52:55], v2 offset:3136                      // 00000000A828: DBFE0C40 34000002
	v_mfma_f32_16x16x32_fp8_fp8 v[168:171], a[166:167], a[102:103], v[168:171]// 00000000A830: D3F300A8 1EA2CDA6
	v_mfma_f32_16x16x32_fp8_fp8 v[204:207], a[168:169], a[96:97], v[204:207]// 00000000A838: D3F300CC 1F32C1A8
	v_mfma_f32_16x16x32_fp8_fp8 v[204:207], a[170:171], a[98:99], v[204:207]// 00000000A840: D3F300CC 1F32C5AA
	v_mfma_f32_16x16x32_fp8_fp8 v[204:207], a[172:173], a[100:101], v[204:207]// 00000000A848: D3F300CC 1F32C9AC
	ds_read_b128 a[56:59], v2 offset:3584                      // 00000000A850: DBFE0E00 38000002
	ds_read_b128 a[60:63], v2 offset:3648                      // 00000000A858: DBFE0E40 3C000002
	v_mfma_f32_16x16x32_fp8_fp8 v[204:207], a[174:175], a[102:103], v[204:207]// 00000000A860: D3F300CC 1F32CDAE
	v_mfma_f32_16x16x32_fp8_fp8 v[172:175], a[160:161], a[104:105], v[172:175]// 00000000A868: D3F300AC 1EB2D1A0
	v_mfma_f32_16x16x32_fp8_fp8 v[172:175], a[162:163], a[106:107], v[172:175]// 00000000A870: D3F300AC 1EB2D5A2
	v_mfma_f32_16x16x32_fp8_fp8 v[172:175], a[164:165], a[108:109], v[172:175]// 00000000A878: D3F300AC 1EB2D9A4
	ds_read_b128 a[64:67], v2 offset:4096                      // 00000000A880: DBFE1000 40000002
	ds_read_b128 a[68:71], v2 offset:4160                      // 00000000A888: DBFE1040 44000002
	v_mfma_f32_16x16x32_fp8_fp8 v[172:175], a[166:167], a[110:111], v[172:175]// 00000000A890: D3F300AC 1EB2DDA6
	v_mfma_f32_16x16x32_fp8_fp8 v[208:211], a[168:169], a[104:105], v[208:211]// 00000000A898: D3F300D0 1F42D1A8
	v_mfma_f32_16x16x32_fp8_fp8 v[208:211], a[170:171], a[106:107], v[208:211]// 00000000A8A0: D3F300D0 1F42D5AA
	v_mfma_f32_16x16x32_fp8_fp8 v[208:211], a[172:173], a[108:109], v[208:211]// 00000000A8A8: D3F300D0 1F42D9AC
	v_mfma_f32_16x16x32_fp8_fp8 v[208:211], a[174:175], a[110:111], v[208:211]// 00000000A8B0: D3F300D0 1F42DDAE
	v_mfma_f32_16x16x32_fp8_fp8 v[176:179], a[160:161], a[112:113], v[176:179]// 00000000A8B8: D3F300B0 1EC2E1A0
	v_mfma_f32_16x16x32_fp8_fp8 v[176:179], a[162:163], a[114:115], v[176:179]// 00000000A8C0: D3F300B0 1EC2E5A2
	v_mfma_f32_16x16x32_fp8_fp8 v[176:179], a[164:165], a[116:117], v[176:179]// 00000000A8C8: D3F300B0 1EC2E9A4
	v_mfma_f32_16x16x32_fp8_fp8 v[176:179], a[166:167], a[118:119], v[176:179]// 00000000A8D0: D3F300B0 1EC2EDA6
	v_mfma_f32_16x16x32_fp8_fp8 v[212:215], a[168:169], a[112:113], v[212:215]// 00000000A8D8: D3F300D4 1F52E1A8
	v_mfma_f32_16x16x32_fp8_fp8 v[212:215], a[170:171], a[114:115], v[212:215]// 00000000A8E0: D3F300D4 1F52E5AA
	v_mfma_f32_16x16x32_fp8_fp8 v[212:215], a[172:173], a[116:117], v[212:215]// 00000000A8E8: D3F300D4 1F52E9AC
	v_mfma_f32_16x16x32_fp8_fp8 v[212:215], a[174:175], a[118:119], v[212:215]// 00000000A8F0: D3F300D4 1F52EDAE
	v_mfma_f32_16x16x32_fp8_fp8 v[180:183], a[160:161], a[120:121], v[180:183]// 00000000A8F8: D3F300B4 1ED2F1A0
	v_mfma_f32_16x16x32_fp8_fp8 v[180:183], a[162:163], a[122:123], v[180:183]// 00000000A900: D3F300B4 1ED2F5A2
	v_mfma_f32_16x16x32_fp8_fp8 v[180:183], a[164:165], a[124:125], v[180:183]// 00000000A908: D3F300B4 1ED2F9A4
	v_mfma_f32_16x16x32_fp8_fp8 v[180:183], a[166:167], a[126:127], v[180:183]// 00000000A910: D3F300B4 1ED2FDA6
	v_mfma_f32_16x16x32_fp8_fp8 v[216:219], a[168:169], a[120:121], v[216:219]// 00000000A918: D3F300D8 1F62F1A8
	v_mfma_f32_16x16x32_fp8_fp8 v[216:219], a[170:171], a[122:123], v[216:219]// 00000000A920: D3F300D8 1F62F5AA
	v_mfma_f32_16x16x32_fp8_fp8 v[216:219], a[172:173], a[124:125], v[216:219]// 00000000A928: D3F300D8 1F62F9AC
	v_mfma_f32_16x16x32_fp8_fp8 v[216:219], a[174:175], a[126:127], v[216:219]// 00000000A930: D3F300D8 1F62FDAE
	v_mfma_f32_16x16x32_fp8_fp8 v[184:187], a[160:161], a[128:129], v[184:187]// 00000000A938: D3F300B8 1EE301A0
	v_mfma_f32_16x16x32_fp8_fp8 v[184:187], a[162:163], a[130:131], v[184:187]// 00000000A940: D3F300B8 1EE305A2
	v_mfma_f32_16x16x32_fp8_fp8 v[184:187], a[164:165], a[132:133], v[184:187]// 00000000A948: D3F300B8 1EE309A4
	v_mfma_f32_16x16x32_fp8_fp8 v[184:187], a[166:167], a[134:135], v[184:187]// 00000000A950: D3F300B8 1EE30DA6
	v_mfma_f32_16x16x32_fp8_fp8 v[220:223], a[168:169], a[128:129], v[220:223]// 00000000A958: D3F300DC 1F7301A8
	v_mfma_f32_16x16x32_fp8_fp8 v[220:223], a[170:171], a[130:131], v[220:223]// 00000000A960: D3F300DC 1F7305AA
	v_mfma_f32_16x16x32_fp8_fp8 v[220:223], a[172:173], a[132:133], v[220:223]// 00000000A968: D3F300DC 1F7309AC
	v_mfma_f32_16x16x32_fp8_fp8 v[220:223], a[174:175], a[134:135], v[220:223]// 00000000A970: D3F300DC 1F730DAE
	v_mfma_f32_16x16x32_fp8_fp8 v[188:191], a[160:161], a[136:137], v[188:191]// 00000000A978: D3F300BC 1EF311A0
	v_mfma_f32_16x16x32_fp8_fp8 v[188:191], a[162:163], a[138:139], v[188:191]// 00000000A980: D3F300BC 1EF315A2
	v_mfma_f32_16x16x32_fp8_fp8 v[188:191], a[164:165], a[140:141], v[188:191]// 00000000A988: D3F300BC 1EF319A4
	s_add_u32 s60, 0x180, s80                                  // 00000000A990: 803C50FF 00000180
	s_cmp_lt_u32 s60, s81                                      // 00000000A998: BF0A513C
	s_cselect_b32 s57, s57, 0                                  // 00000000A99C: 85398039
	v_mfma_f32_16x16x32_fp8_fp8 v[188:191], a[166:167], a[142:143], v[188:191]// 00000000A9A0: D3F300BC 1EF31DA6
	s_add_u32 s60, 0x100, s80                                  // 00000000A9A8: 803C50FF 00000100
	s_cmp_lt_u32 s60, s81                                      // 00000000A9B0: BF0A513C
	s_cselect_b32 s58, s58, 0                                  // 00000000A9B4: 853A803A
	v_mfma_f32_16x16x32_fp8_fp8 v[224:227], a[168:169], a[136:137], v[224:227]// 00000000A9B8: D3F300E0 1F8311A8
	s_add_u32 s24, s58, s24                                    // 00000000A9C0: 8018183A
	s_addc_u32 s25, 0, s25                                     // 00000000A9C4: 82191980
	v_mfma_f32_16x16x32_fp8_fp8 v[224:227], a[170:171], a[138:139], v[224:227]// 00000000A9C8: D3F300E0 1F8315AA
	s_add_u32 s20, s57, s20                                    // 00000000A9D0: 80141439
	s_addc_u32 s21, 0, s21                                     // 00000000A9D4: 82151580
	v_mfma_f32_16x16x32_fp8_fp8 v[224:227], a[172:173], a[140:141], v[224:227]// 00000000A9D8: D3F300E0 1F8319AC
	s_add_u32 s84, s83, s84                                    // 00000000A9E0: 80545453
	s_addc_u32 s85, 0, s85                                     // 00000000A9E4: 82555580
	v_mfma_f32_16x16x32_fp8_fp8 v[224:227], a[174:175], a[142:143], v[224:227]// 00000000A9E8: D3F300E0 1F831DAE
	s_addk_i32 s80, 0x80                                       // 00000000A9F0: B7500080
	s_cmp_lt_i32 s80, s81                                      // 00000000A9F4: BF045150
	s_cbranch_scc0 label_2003                                  // 00000000A9F8: BF840001
	s_branch label_1C9A                                        // 00000000A9FC: BF82FC97

000000000000aa00 <label_2003>:
	v_mul_f32_dpp v84, v24, v84 row_newbcast:0 row_mask:0xf bank_mask:0xf// 00000000AA00: 0AA8A8FA FF015018
	v_mul_f32_dpp v85, v24, v85 row_newbcast:1 row_mask:0xf bank_mask:0xf// 00000000AA08: 0AAAAAFA FF015118
	v_mul_f32_dpp v86, v24, v86 row_newbcast:2 row_mask:0xf bank_mask:0xf// 00000000AA10: 0AACACFA FF015218
	v_mul_f32_dpp v87, v24, v87 row_newbcast:3 row_mask:0xf bank_mask:0xf// 00000000AA18: 0AAEAEFA FF015318
	v_mul_f32_dpp v88, v24, v88 row_newbcast:0 row_mask:0xf bank_mask:0xf// 00000000AA20: 0AB0B0FA FF015018
	v_mul_f32_dpp v89, v24, v89 row_newbcast:1 row_mask:0xf bank_mask:0xf// 00000000AA28: 0AB2B2FA FF015118
	v_mul_f32_dpp v90, v24, v90 row_newbcast:2 row_mask:0xf bank_mask:0xf// 00000000AA30: 0AB4B4FA FF015218
	v_mul_f32_dpp v91, v24, v91 row_newbcast:3 row_mask:0xf bank_mask:0xf// 00000000AA38: 0AB6B6FA FF015318
	v_mul_f32_dpp v92, v24, v92 row_newbcast:0 row_mask:0xf bank_mask:0xf// 00000000AA40: 0AB8B8FA FF015018
	v_mul_f32_dpp v93, v24, v93 row_newbcast:1 row_mask:0xf bank_mask:0xf// 00000000AA48: 0ABABAFA FF015118
	v_mul_f32_dpp v94, v24, v94 row_newbcast:2 row_mask:0xf bank_mask:0xf// 00000000AA50: 0ABCBCFA FF015218
	v_mul_f32_dpp v95, v24, v95 row_newbcast:3 row_mask:0xf bank_mask:0xf// 00000000AA58: 0ABEBEFA FF015318
	v_mul_f32_dpp v96, v24, v96 row_newbcast:0 row_mask:0xf bank_mask:0xf// 00000000AA60: 0AC0C0FA FF015018
	v_mul_f32_dpp v97, v24, v97 row_newbcast:1 row_mask:0xf bank_mask:0xf// 00000000AA68: 0AC2C2FA FF015118
	v_mul_f32_dpp v98, v24, v98 row_newbcast:2 row_mask:0xf bank_mask:0xf// 00000000AA70: 0AC4C4FA FF015218
	v_mul_f32_dpp v99, v24, v99 row_newbcast:3 row_mask:0xf bank_mask:0xf// 00000000AA78: 0AC6C6FA FF015318
	v_mul_f32_dpp v100, v24, v100 row_newbcast:0 row_mask:0xf bank_mask:0xf// 00000000AA80: 0AC8C8FA FF015018
	v_mul_f32_dpp v101, v24, v101 row_newbcast:1 row_mask:0xf bank_mask:0xf// 00000000AA88: 0ACACAFA FF015118
	v_mul_f32_dpp v102, v24, v102 row_newbcast:2 row_mask:0xf bank_mask:0xf// 00000000AA90: 0ACCCCFA FF015218
	v_mul_f32_dpp v103, v24, v103 row_newbcast:3 row_mask:0xf bank_mask:0xf// 00000000AA98: 0ACECEFA FF015318
	v_mul_f32_dpp v104, v24, v104 row_newbcast:0 row_mask:0xf bank_mask:0xf// 00000000AAA0: 0AD0D0FA FF015018
	v_mul_f32_dpp v105, v24, v105 row_newbcast:1 row_mask:0xf bank_mask:0xf// 00000000AAA8: 0AD2D2FA FF015118
	v_mul_f32_dpp v106, v24, v106 row_newbcast:2 row_mask:0xf bank_mask:0xf// 00000000AAB0: 0AD4D4FA FF015218
	v_mul_f32_dpp v107, v24, v107 row_newbcast:3 row_mask:0xf bank_mask:0xf// 00000000AAB8: 0AD6D6FA FF015318
	v_mul_f32_dpp v108, v24, v108 row_newbcast:0 row_mask:0xf bank_mask:0xf// 00000000AAC0: 0AD8D8FA FF015018
	v_mul_f32_dpp v109, v24, v109 row_newbcast:1 row_mask:0xf bank_mask:0xf// 00000000AAC8: 0ADADAFA FF015118
	v_mul_f32_dpp v110, v24, v110 row_newbcast:2 row_mask:0xf bank_mask:0xf// 00000000AAD0: 0ADCDCFA FF015218
	v_mul_f32_dpp v111, v24, v111 row_newbcast:3 row_mask:0xf bank_mask:0xf// 00000000AAD8: 0ADEDEFA FF015318
	v_mul_f32_dpp v112, v24, v112 row_newbcast:0 row_mask:0xf bank_mask:0xf// 00000000AAE0: 0AE0E0FA FF015018
	v_mul_f32_dpp v113, v24, v113 row_newbcast:1 row_mask:0xf bank_mask:0xf// 00000000AAE8: 0AE2E2FA FF015118
	v_mul_f32_dpp v114, v24, v114 row_newbcast:2 row_mask:0xf bank_mask:0xf// 00000000AAF0: 0AE4E4FA FF015218
	v_mul_f32_dpp v115, v24, v115 row_newbcast:3 row_mask:0xf bank_mask:0xf// 00000000AAF8: 0AE6E6FA FF015318
	v_mul_f32_dpp v116, v24, v116 row_newbcast:0 row_mask:0xf bank_mask:0xf// 00000000AB00: 0AE8E8FA FF015018
	v_mul_f32_dpp v117, v24, v117 row_newbcast:1 row_mask:0xf bank_mask:0xf// 00000000AB08: 0AEAEAFA FF015118
	v_mul_f32_dpp v118, v24, v118 row_newbcast:2 row_mask:0xf bank_mask:0xf// 00000000AB10: 0AECECFA FF015218
	v_mul_f32_dpp v119, v24, v119 row_newbcast:3 row_mask:0xf bank_mask:0xf// 00000000AB18: 0AEEEEFA FF015318
	v_mul_f32_dpp v120, v24, v120 row_newbcast:4 row_mask:0xf bank_mask:0xf// 00000000AB20: 0AF0F0FA FF015418
	v_mul_f32_dpp v121, v24, v121 row_newbcast:5 row_mask:0xf bank_mask:0xf// 00000000AB28: 0AF2F2FA FF015518
	v_mul_f32_dpp v122, v24, v122 row_newbcast:6 row_mask:0xf bank_mask:0xf// 00000000AB30: 0AF4F4FA FF015618
	v_mul_f32_dpp v123, v24, v123 row_newbcast:7 row_mask:0xf bank_mask:0xf// 00000000AB38: 0AF6F6FA FF015718
	v_mul_f32_dpp v124, v24, v124 row_newbcast:4 row_mask:0xf bank_mask:0xf// 00000000AB40: 0AF8F8FA FF015418
	v_mul_f32_dpp v125, v24, v125 row_newbcast:5 row_mask:0xf bank_mask:0xf// 00000000AB48: 0AFAFAFA FF015518
	v_mul_f32_dpp v126, v24, v126 row_newbcast:6 row_mask:0xf bank_mask:0xf// 00000000AB50: 0AFCFCFA FF015618
	v_mul_f32_dpp v127, v24, v127 row_newbcast:7 row_mask:0xf bank_mask:0xf// 00000000AB58: 0AFEFEFA FF015718
	v_mul_f32_dpp v128, v24, v128 row_newbcast:4 row_mask:0xf bank_mask:0xf// 00000000AB60: 0B0100FA FF015418
	v_mul_f32_dpp v129, v24, v129 row_newbcast:5 row_mask:0xf bank_mask:0xf// 00000000AB68: 0B0302FA FF015518
	v_mul_f32_dpp v130, v24, v130 row_newbcast:6 row_mask:0xf bank_mask:0xf// 00000000AB70: 0B0504FA FF015618
	v_mul_f32_dpp v131, v24, v131 row_newbcast:7 row_mask:0xf bank_mask:0xf// 00000000AB78: 0B0706FA FF015718
	v_mul_f32_dpp v132, v24, v132 row_newbcast:4 row_mask:0xf bank_mask:0xf// 00000000AB80: 0B0908FA FF015418
	v_mul_f32_dpp v133, v24, v133 row_newbcast:5 row_mask:0xf bank_mask:0xf// 00000000AB88: 0B0B0AFA FF015518
	v_mul_f32_dpp v134, v24, v134 row_newbcast:6 row_mask:0xf bank_mask:0xf// 00000000AB90: 0B0D0CFA FF015618
	v_mul_f32_dpp v135, v24, v135 row_newbcast:7 row_mask:0xf bank_mask:0xf// 00000000AB98: 0B0F0EFA FF015718
	v_mul_f32_dpp v136, v24, v136 row_newbcast:4 row_mask:0xf bank_mask:0xf// 00000000ABA0: 0B1110FA FF015418
	v_mul_f32_dpp v137, v24, v137 row_newbcast:5 row_mask:0xf bank_mask:0xf// 00000000ABA8: 0B1312FA FF015518
	v_mul_f32_dpp v138, v24, v138 row_newbcast:6 row_mask:0xf bank_mask:0xf// 00000000ABB0: 0B1514FA FF015618
	v_mul_f32_dpp v139, v24, v139 row_newbcast:7 row_mask:0xf bank_mask:0xf// 00000000ABB8: 0B1716FA FF015718
	v_mul_f32_dpp v140, v24, v140 row_newbcast:4 row_mask:0xf bank_mask:0xf// 00000000ABC0: 0B1918FA FF015418
	v_mul_f32_dpp v141, v24, v141 row_newbcast:5 row_mask:0xf bank_mask:0xf// 00000000ABC8: 0B1B1AFA FF015518
	v_mul_f32_dpp v142, v24, v142 row_newbcast:6 row_mask:0xf bank_mask:0xf// 00000000ABD0: 0B1D1CFA FF015618
	v_mul_f32_dpp v143, v24, v143 row_newbcast:7 row_mask:0xf bank_mask:0xf// 00000000ABD8: 0B1F1EFA FF015718
	v_mul_f32_dpp v144, v24, v144 row_newbcast:4 row_mask:0xf bank_mask:0xf// 00000000ABE0: 0B2120FA FF015418
	v_mul_f32_dpp v145, v24, v145 row_newbcast:5 row_mask:0xf bank_mask:0xf// 00000000ABE8: 0B2322FA FF015518
	v_mul_f32_dpp v146, v24, v146 row_newbcast:6 row_mask:0xf bank_mask:0xf// 00000000ABF0: 0B2524FA FF015618
	v_mul_f32_dpp v147, v24, v147 row_newbcast:7 row_mask:0xf bank_mask:0xf// 00000000ABF8: 0B2726FA FF015718
	v_mul_f32_dpp v148, v24, v148 row_newbcast:4 row_mask:0xf bank_mask:0xf// 00000000AC00: 0B2928FA FF015418
	v_mul_f32_dpp v149, v24, v149 row_newbcast:5 row_mask:0xf bank_mask:0xf// 00000000AC08: 0B2B2AFA FF015518
	v_mul_f32_dpp v150, v24, v150 row_newbcast:6 row_mask:0xf bank_mask:0xf// 00000000AC10: 0B2D2CFA FF015618
	v_mul_f32_dpp v151, v24, v151 row_newbcast:7 row_mask:0xf bank_mask:0xf// 00000000AC18: 0B2F2EFA FF015718
	v_mul_f32_dpp v152, v24, v152 row_newbcast:4 row_mask:0xf bank_mask:0xf// 00000000AC20: 0B3130FA FF015418
	v_mul_f32_dpp v153, v24, v153 row_newbcast:5 row_mask:0xf bank_mask:0xf// 00000000AC28: 0B3332FA FF015518
	v_mul_f32_dpp v154, v24, v154 row_newbcast:6 row_mask:0xf bank_mask:0xf// 00000000AC30: 0B3534FA FF015618
	v_mul_f32_dpp v155, v24, v155 row_newbcast:7 row_mask:0xf bank_mask:0xf// 00000000AC38: 0B3736FA FF015718
	v_mul_f32_dpp v156, v26, v156 row_newbcast:0 row_mask:0xf bank_mask:0xf// 00000000AC40: 0B3938FA FF01501A
	v_mul_f32_dpp v157, v26, v157 row_newbcast:1 row_mask:0xf bank_mask:0xf// 00000000AC48: 0B3B3AFA FF01511A
	v_mul_f32_dpp v158, v26, v158 row_newbcast:2 row_mask:0xf bank_mask:0xf// 00000000AC50: 0B3D3CFA FF01521A
	v_mul_f32_dpp v159, v26, v159 row_newbcast:3 row_mask:0xf bank_mask:0xf// 00000000AC58: 0B3F3EFA FF01531A
	v_mul_f32_dpp v160, v26, v160 row_newbcast:0 row_mask:0xf bank_mask:0xf// 00000000AC60: 0B4140FA FF01501A
	v_mul_f32_dpp v161, v26, v161 row_newbcast:1 row_mask:0xf bank_mask:0xf// 00000000AC68: 0B4342FA FF01511A
	v_mul_f32_dpp v162, v26, v162 row_newbcast:2 row_mask:0xf bank_mask:0xf// 00000000AC70: 0B4544FA FF01521A
	v_mul_f32_dpp v163, v26, v163 row_newbcast:3 row_mask:0xf bank_mask:0xf// 00000000AC78: 0B4746FA FF01531A
	v_mul_f32_dpp v164, v26, v164 row_newbcast:0 row_mask:0xf bank_mask:0xf// 00000000AC80: 0B4948FA FF01501A
	v_mul_f32_dpp v165, v26, v165 row_newbcast:1 row_mask:0xf bank_mask:0xf// 00000000AC88: 0B4B4AFA FF01511A
	v_mul_f32_dpp v166, v26, v166 row_newbcast:2 row_mask:0xf bank_mask:0xf// 00000000AC90: 0B4D4CFA FF01521A
	v_mul_f32_dpp v167, v26, v167 row_newbcast:3 row_mask:0xf bank_mask:0xf// 00000000AC98: 0B4F4EFA FF01531A
	v_mul_f32_dpp v168, v26, v168 row_newbcast:0 row_mask:0xf bank_mask:0xf// 00000000ACA0: 0B5150FA FF01501A
	v_mul_f32_dpp v169, v26, v169 row_newbcast:1 row_mask:0xf bank_mask:0xf// 00000000ACA8: 0B5352FA FF01511A
	v_mul_f32_dpp v170, v26, v170 row_newbcast:2 row_mask:0xf bank_mask:0xf// 00000000ACB0: 0B5554FA FF01521A
	v_mul_f32_dpp v171, v26, v171 row_newbcast:3 row_mask:0xf bank_mask:0xf// 00000000ACB8: 0B5756FA FF01531A
	v_mul_f32_dpp v172, v26, v172 row_newbcast:0 row_mask:0xf bank_mask:0xf// 00000000ACC0: 0B5958FA FF01501A
	v_mul_f32_dpp v173, v26, v173 row_newbcast:1 row_mask:0xf bank_mask:0xf// 00000000ACC8: 0B5B5AFA FF01511A
	v_mul_f32_dpp v174, v26, v174 row_newbcast:2 row_mask:0xf bank_mask:0xf// 00000000ACD0: 0B5D5CFA FF01521A
	v_mul_f32_dpp v175, v26, v175 row_newbcast:3 row_mask:0xf bank_mask:0xf// 00000000ACD8: 0B5F5EFA FF01531A
	v_mul_f32_dpp v176, v26, v176 row_newbcast:0 row_mask:0xf bank_mask:0xf// 00000000ACE0: 0B6160FA FF01501A
	v_mul_f32_dpp v177, v26, v177 row_newbcast:1 row_mask:0xf bank_mask:0xf// 00000000ACE8: 0B6362FA FF01511A
	v_mul_f32_dpp v178, v26, v178 row_newbcast:2 row_mask:0xf bank_mask:0xf// 00000000ACF0: 0B6564FA FF01521A
	v_mul_f32_dpp v179, v26, v179 row_newbcast:3 row_mask:0xf bank_mask:0xf// 00000000ACF8: 0B6766FA FF01531A
	v_mul_f32_dpp v180, v26, v180 row_newbcast:0 row_mask:0xf bank_mask:0xf// 00000000AD00: 0B6968FA FF01501A
	v_mul_f32_dpp v181, v26, v181 row_newbcast:1 row_mask:0xf bank_mask:0xf// 00000000AD08: 0B6B6AFA FF01511A
	v_mul_f32_dpp v182, v26, v182 row_newbcast:2 row_mask:0xf bank_mask:0xf// 00000000AD10: 0B6D6CFA FF01521A
	v_mul_f32_dpp v183, v26, v183 row_newbcast:3 row_mask:0xf bank_mask:0xf// 00000000AD18: 0B6F6EFA FF01531A
	v_mul_f32_dpp v184, v26, v184 row_newbcast:0 row_mask:0xf bank_mask:0xf// 00000000AD20: 0B7170FA FF01501A
	v_mul_f32_dpp v185, v26, v185 row_newbcast:1 row_mask:0xf bank_mask:0xf// 00000000AD28: 0B7372FA FF01511A
	v_mul_f32_dpp v186, v26, v186 row_newbcast:2 row_mask:0xf bank_mask:0xf// 00000000AD30: 0B7574FA FF01521A
	v_mul_f32_dpp v187, v26, v187 row_newbcast:3 row_mask:0xf bank_mask:0xf// 00000000AD38: 0B7776FA FF01531A
	v_mul_f32_dpp v188, v26, v188 row_newbcast:0 row_mask:0xf bank_mask:0xf// 00000000AD40: 0B7978FA FF01501A
	v_mul_f32_dpp v189, v26, v189 row_newbcast:1 row_mask:0xf bank_mask:0xf// 00000000AD48: 0B7B7AFA FF01511A
	v_mul_f32_dpp v190, v26, v190 row_newbcast:2 row_mask:0xf bank_mask:0xf// 00000000AD50: 0B7D7CFA FF01521A
	v_mul_f32_dpp v191, v26, v191 row_newbcast:3 row_mask:0xf bank_mask:0xf// 00000000AD58: 0B7F7EFA FF01531A
	v_mul_f32_dpp v192, v26, v192 row_newbcast:4 row_mask:0xf bank_mask:0xf// 00000000AD60: 0B8180FA FF01541A
	v_mul_f32_dpp v193, v26, v193 row_newbcast:5 row_mask:0xf bank_mask:0xf// 00000000AD68: 0B8382FA FF01551A
	v_mul_f32_dpp v194, v26, v194 row_newbcast:6 row_mask:0xf bank_mask:0xf// 00000000AD70: 0B8584FA FF01561A
	v_mul_f32_dpp v195, v26, v195 row_newbcast:7 row_mask:0xf bank_mask:0xf// 00000000AD78: 0B8786FA FF01571A
	v_mul_f32_dpp v196, v26, v196 row_newbcast:4 row_mask:0xf bank_mask:0xf// 00000000AD80: 0B8988FA FF01541A
	v_mul_f32_dpp v197, v26, v197 row_newbcast:5 row_mask:0xf bank_mask:0xf// 00000000AD88: 0B8B8AFA FF01551A
	v_mul_f32_dpp v198, v26, v198 row_newbcast:6 row_mask:0xf bank_mask:0xf// 00000000AD90: 0B8D8CFA FF01561A
	v_mul_f32_dpp v199, v26, v199 row_newbcast:7 row_mask:0xf bank_mask:0xf// 00000000AD98: 0B8F8EFA FF01571A
	v_mul_f32_dpp v200, v26, v200 row_newbcast:4 row_mask:0xf bank_mask:0xf// 00000000ADA0: 0B9190FA FF01541A
	v_mul_f32_dpp v201, v26, v201 row_newbcast:5 row_mask:0xf bank_mask:0xf// 00000000ADA8: 0B9392FA FF01551A
	v_mul_f32_dpp v202, v26, v202 row_newbcast:6 row_mask:0xf bank_mask:0xf// 00000000ADB0: 0B9594FA FF01561A
	v_mul_f32_dpp v203, v26, v203 row_newbcast:7 row_mask:0xf bank_mask:0xf// 00000000ADB8: 0B9796FA FF01571A
	v_mul_f32_dpp v204, v26, v204 row_newbcast:4 row_mask:0xf bank_mask:0xf// 00000000ADC0: 0B9998FA FF01541A
	v_mul_f32_dpp v205, v26, v205 row_newbcast:5 row_mask:0xf bank_mask:0xf// 00000000ADC8: 0B9B9AFA FF01551A
	v_mul_f32_dpp v206, v26, v206 row_newbcast:6 row_mask:0xf bank_mask:0xf// 00000000ADD0: 0B9D9CFA FF01561A
	v_mul_f32_dpp v207, v26, v207 row_newbcast:7 row_mask:0xf bank_mask:0xf// 00000000ADD8: 0B9F9EFA FF01571A
	v_mul_f32_dpp v208, v26, v208 row_newbcast:4 row_mask:0xf bank_mask:0xf// 00000000ADE0: 0BA1A0FA FF01541A
	v_mul_f32_dpp v209, v26, v209 row_newbcast:5 row_mask:0xf bank_mask:0xf// 00000000ADE8: 0BA3A2FA FF01551A
	v_mul_f32_dpp v210, v26, v210 row_newbcast:6 row_mask:0xf bank_mask:0xf// 00000000ADF0: 0BA5A4FA FF01561A
	v_mul_f32_dpp v211, v26, v211 row_newbcast:7 row_mask:0xf bank_mask:0xf// 00000000ADF8: 0BA7A6FA FF01571A
	v_mul_f32_dpp v212, v26, v212 row_newbcast:4 row_mask:0xf bank_mask:0xf// 00000000AE00: 0BA9A8FA FF01541A
	v_mul_f32_dpp v213, v26, v213 row_newbcast:5 row_mask:0xf bank_mask:0xf// 00000000AE08: 0BABAAFA FF01551A
	v_mul_f32_dpp v214, v26, v214 row_newbcast:6 row_mask:0xf bank_mask:0xf// 00000000AE10: 0BADACFA FF01561A
	v_mul_f32_dpp v215, v26, v215 row_newbcast:7 row_mask:0xf bank_mask:0xf// 00000000AE18: 0BAFAEFA FF01571A
	v_mul_f32_dpp v216, v26, v216 row_newbcast:4 row_mask:0xf bank_mask:0xf// 00000000AE20: 0BB1B0FA FF01541A
	v_mul_f32_dpp v217, v26, v217 row_newbcast:5 row_mask:0xf bank_mask:0xf// 00000000AE28: 0BB3B2FA FF01551A
	v_mul_f32_dpp v218, v26, v218 row_newbcast:6 row_mask:0xf bank_mask:0xf// 00000000AE30: 0BB5B4FA FF01561A
	v_mul_f32_dpp v219, v26, v219 row_newbcast:7 row_mask:0xf bank_mask:0xf// 00000000AE38: 0BB7B6FA FF01571A
	v_mul_f32_dpp v220, v26, v220 row_newbcast:4 row_mask:0xf bank_mask:0xf// 00000000AE40: 0BB9B8FA FF01541A
	v_mul_f32_dpp v221, v26, v221 row_newbcast:5 row_mask:0xf bank_mask:0xf// 00000000AE48: 0BBBBAFA FF01551A
	v_mul_f32_dpp v222, v26, v222 row_newbcast:6 row_mask:0xf bank_mask:0xf// 00000000AE50: 0BBDBCFA FF01561A
	v_mul_f32_dpp v223, v26, v223 row_newbcast:7 row_mask:0xf bank_mask:0xf// 00000000AE58: 0BBFBEFA FF01571A
	v_mul_f32_dpp v224, v26, v224 row_newbcast:4 row_mask:0xf bank_mask:0xf// 00000000AE60: 0BC1C0FA FF01541A
	v_mul_f32_dpp v225, v26, v225 row_newbcast:5 row_mask:0xf bank_mask:0xf// 00000000AE68: 0BC3C2FA FF01551A
	v_mul_f32_dpp v226, v26, v226 row_newbcast:6 row_mask:0xf bank_mask:0xf// 00000000AE70: 0BC5C4FA FF01561A
	v_mul_f32_dpp v227, v26, v227 row_newbcast:7 row_mask:0xf bank_mask:0xf// 00000000AE78: 0BC7C6FA FF01571A
	v_mov_b32_e32 v4, v37                                      // 00000000AE80: 7E080325
	v_mov_b32_e32 v5, v4                                       // 00000000AE84: 7E0A0304
	v_pk_mul_f32 v[84:85], v[4:5], v[84:85]                    // 00000000AE88: D3B14054 1802A904
	v_pk_mul_f32 v[156:157], v[4:5], v[156:157]                // 00000000AE90: D3B1409C 18033904
	v_pk_mul_f32 v[86:87], v[4:5], v[86:87]                    // 00000000AE98: D3B14056 1802AD04
	v_pk_mul_f32 v[158:159], v[4:5], v[158:159]                // 00000000AEA0: D3B1409E 18033D04
	v_pk_mul_f32 v[120:121], v[4:5], v[120:121]                // 00000000AEA8: D3B14078 1802F104
	v_pk_mul_f32 v[192:193], v[4:5], v[192:193]                // 00000000AEB0: D3B140C0 18038104
	v_pk_mul_f32 v[122:123], v[4:5], v[122:123]                // 00000000AEB8: D3B1407A 1802F504
	v_pk_mul_f32 v[194:195], v[4:5], v[194:195]                // 00000000AEC0: D3B140C2 18038504
	v_mov_b32_e32 v4, v38                                      // 00000000AEC8: 7E080326
	v_mov_b32_e32 v5, v4                                       // 00000000AECC: 7E0A0304
	v_pk_mul_f32 v[88:89], v[4:5], v[88:89]                    // 00000000AED0: D3B14058 1802B104
	v_pk_mul_f32 v[160:161], v[4:5], v[160:161]                // 00000000AED8: D3B140A0 18034104
	v_pk_mul_f32 v[90:91], v[4:5], v[90:91]                    // 00000000AEE0: D3B1405A 1802B504
	v_pk_mul_f32 v[162:163], v[4:5], v[162:163]                // 00000000AEE8: D3B140A2 18034504
	v_pk_mul_f32 v[124:125], v[4:5], v[124:125]                // 00000000AEF0: D3B1407C 1802F904
	v_pk_mul_f32 v[196:197], v[4:5], v[196:197]                // 00000000AEF8: D3B140C4 18038904
	v_pk_mul_f32 v[126:127], v[4:5], v[126:127]                // 00000000AF00: D3B1407E 1802FD04
	v_pk_mul_f32 v[198:199], v[4:5], v[198:199]                // 00000000AF08: D3B140C6 18038D04
	v_mov_b32_e32 v4, v39                                      // 00000000AF10: 7E080327
	v_mov_b32_e32 v5, v4                                       // 00000000AF14: 7E0A0304
	v_pk_mul_f32 v[92:93], v[4:5], v[92:93]                    // 00000000AF18: D3B1405C 1802B904
	v_pk_mul_f32 v[164:165], v[4:5], v[164:165]                // 00000000AF20: D3B140A4 18034904
	v_pk_mul_f32 v[94:95], v[4:5], v[94:95]                    // 00000000AF28: D3B1405E 1802BD04
	v_pk_mul_f32 v[166:167], v[4:5], v[166:167]                // 00000000AF30: D3B140A6 18034D04
	v_pk_mul_f32 v[128:129], v[4:5], v[128:129]                // 00000000AF38: D3B14080 18030104
	v_pk_mul_f32 v[200:201], v[4:5], v[200:201]                // 00000000AF40: D3B140C8 18039104
	v_pk_mul_f32 v[130:131], v[4:5], v[130:131]                // 00000000AF48: D3B14082 18030504
	v_pk_mul_f32 v[202:203], v[4:5], v[202:203]                // 00000000AF50: D3B140CA 18039504
	v_mov_b32_e32 v4, v40                                      // 00000000AF58: 7E080328
	v_mov_b32_e32 v5, v4                                       // 00000000AF5C: 7E0A0304
	v_pk_mul_f32 v[96:97], v[4:5], v[96:97]                    // 00000000AF60: D3B14060 1802C104
	v_pk_mul_f32 v[168:169], v[4:5], v[168:169]                // 00000000AF68: D3B140A8 18035104
	v_pk_mul_f32 v[98:99], v[4:5], v[98:99]                    // 00000000AF70: D3B14062 1802C504
	v_pk_mul_f32 v[170:171], v[4:5], v[170:171]                // 00000000AF78: D3B140AA 18035504
	v_pk_mul_f32 v[132:133], v[4:5], v[132:133]                // 00000000AF80: D3B14084 18030904
	v_pk_mul_f32 v[204:205], v[4:5], v[204:205]                // 00000000AF88: D3B140CC 18039904
	v_pk_mul_f32 v[134:135], v[4:5], v[134:135]                // 00000000AF90: D3B14086 18030D04
	v_pk_mul_f32 v[206:207], v[4:5], v[206:207]                // 00000000AF98: D3B140CE 18039D04
	v_mov_b32_e32 v4, v41                                      // 00000000AFA0: 7E080329
	v_mov_b32_e32 v5, v4                                       // 00000000AFA4: 7E0A0304
	v_pk_mul_f32 v[100:101], v[4:5], v[100:101]                // 00000000AFA8: D3B14064 1802C904
	v_pk_mul_f32 v[172:173], v[4:5], v[172:173]                // 00000000AFB0: D3B140AC 18035904
	v_pk_mul_f32 v[102:103], v[4:5], v[102:103]                // 00000000AFB8: D3B14066 1802CD04
	v_pk_mul_f32 v[174:175], v[4:5], v[174:175]                // 00000000AFC0: D3B140AE 18035D04
	v_pk_mul_f32 v[136:137], v[4:5], v[136:137]                // 00000000AFC8: D3B14088 18031104
	v_pk_mul_f32 v[208:209], v[4:5], v[208:209]                // 00000000AFD0: D3B140D0 1803A104
	v_pk_mul_f32 v[138:139], v[4:5], v[138:139]                // 00000000AFD8: D3B1408A 18031504
	v_pk_mul_f32 v[210:211], v[4:5], v[210:211]                // 00000000AFE0: D3B140D2 1803A504
	v_mov_b32_e32 v4, v42                                      // 00000000AFE8: 7E08032A
	v_mov_b32_e32 v5, v4                                       // 00000000AFEC: 7E0A0304
	v_pk_mul_f32 v[104:105], v[4:5], v[104:105]                // 00000000AFF0: D3B14068 1802D104
	v_pk_mul_f32 v[176:177], v[4:5], v[176:177]                // 00000000AFF8: D3B140B0 18036104
	v_pk_mul_f32 v[106:107], v[4:5], v[106:107]                // 00000000B000: D3B1406A 1802D504
	v_pk_mul_f32 v[178:179], v[4:5], v[178:179]                // 00000000B008: D3B140B2 18036504
	v_pk_mul_f32 v[140:141], v[4:5], v[140:141]                // 00000000B010: D3B1408C 18031904
	v_pk_mul_f32 v[212:213], v[4:5], v[212:213]                // 00000000B018: D3B140D4 1803A904
	v_pk_mul_f32 v[142:143], v[4:5], v[142:143]                // 00000000B020: D3B1408E 18031D04
	v_pk_mul_f32 v[214:215], v[4:5], v[214:215]                // 00000000B028: D3B140D6 1803AD04
	v_mov_b32_e32 v4, v43                                      // 00000000B030: 7E08032B
	v_mov_b32_e32 v5, v4                                       // 00000000B034: 7E0A0304
	v_pk_mul_f32 v[108:109], v[4:5], v[108:109]                // 00000000B038: D3B1406C 1802D904
	v_pk_mul_f32 v[180:181], v[4:5], v[180:181]                // 00000000B040: D3B140B4 18036904
	v_pk_mul_f32 v[110:111], v[4:5], v[110:111]                // 00000000B048: D3B1406E 1802DD04
	v_pk_mul_f32 v[182:183], v[4:5], v[182:183]                // 00000000B050: D3B140B6 18036D04
	v_pk_mul_f32 v[144:145], v[4:5], v[144:145]                // 00000000B058: D3B14090 18032104
	v_pk_mul_f32 v[216:217], v[4:5], v[216:217]                // 00000000B060: D3B140D8 1803B104
	v_pk_mul_f32 v[146:147], v[4:5], v[146:147]                // 00000000B068: D3B14092 18032504
	v_pk_mul_f32 v[218:219], v[4:5], v[218:219]                // 00000000B070: D3B140DA 1803B504
	v_mov_b32_e32 v4, v44                                      // 00000000B078: 7E08032C
	v_mov_b32_e32 v5, v4                                       // 00000000B07C: 7E0A0304
	v_pk_mul_f32 v[112:113], v[4:5], v[112:113]                // 00000000B080: D3B14070 1802E104
	v_pk_mul_f32 v[184:185], v[4:5], v[184:185]                // 00000000B088: D3B140B8 18037104
	v_pk_mul_f32 v[114:115], v[4:5], v[114:115]                // 00000000B090: D3B14072 1802E504
	v_pk_mul_f32 v[186:187], v[4:5], v[186:187]                // 00000000B098: D3B140BA 18037504
	v_pk_mul_f32 v[148:149], v[4:5], v[148:149]                // 00000000B0A0: D3B14094 18032904
	v_pk_mul_f32 v[220:221], v[4:5], v[220:221]                // 00000000B0A8: D3B140DC 1803B904
	v_pk_mul_f32 v[150:151], v[4:5], v[150:151]                // 00000000B0B0: D3B14096 18032D04
	v_pk_mul_f32 v[222:223], v[4:5], v[222:223]                // 00000000B0B8: D3B140DE 1803BD04
	v_mov_b32_e32 v4, v45                                      // 00000000B0C0: 7E08032D
	v_mov_b32_e32 v5, v4                                       // 00000000B0C4: 7E0A0304
	v_pk_mul_f32 v[116:117], v[4:5], v[116:117]                // 00000000B0C8: D3B14074 1802E904
	v_pk_mul_f32 v[188:189], v[4:5], v[188:189]                // 00000000B0D0: D3B140BC 18037904
	v_pk_mul_f32 v[118:119], v[4:5], v[118:119]                // 00000000B0D8: D3B14076 1802ED04
	v_pk_mul_f32 v[190:191], v[4:5], v[190:191]                // 00000000B0E0: D3B140BE 18037D04
	v_pk_mul_f32 v[152:153], v[4:5], v[152:153]                // 00000000B0E8: D3B14098 18033104
	v_pk_mul_f32 v[224:225], v[4:5], v[224:225]                // 00000000B0F0: D3B140E0 1803C104
	v_pk_mul_f32 v[154:155], v[4:5], v[154:155]                // 00000000B0F8: D3B1409A 18033504
	v_pk_mul_f32 v[226:227], v[4:5], v[226:227]                // 00000000B100: D3B140E2 1803C504
	s_cmp_eq_u32 s88, 0                                        // 00000000B108: BF068058
	s_cbranch_scc0 label_2C50                                  // 00000000B10C: BF840A89
	s_cmp_eq_u32 s89, 0                                        // 00000000B110: BF068059
	s_cbranch_scc1 label_249E                                  // 00000000B114: BF8502D5
	v_mov_b32_e32 v8, v1                                       // 00000000B118: 7E100301
	v_mov_b32_e32 v9, v1                                       // 00000000B11C: 7E120301
	s_mov_b32 s60, s6                                          // 00000000B120: BEBC0006
	s_mov_b32 s61, s6                                          // 00000000B124: BEBD0006
	v_pk_mul_f32 v[4:5], v[84:85], v[84:85]                    // 00000000B128: D3B14004 1802A954
	v_pk_mul_f32 v[6:7], v[86:87], v[86:87]                    // 00000000B130: D3B14006 1802AD56
	v_pk_fma_f32 v[4:5], v[4:5], s[78:79], v[8:9]              // 00000000B138: D3B04004 1C209D04
	v_pk_fma_f32 v[6:7], v[6:7], s[78:79], v[8:9]              // 00000000B140: D3B04006 1C209D06
	v_pk_mul_f32 v[4:5], v[4:5], v[84:85]                      // 00000000B148: D3B14004 1802A904
	v_pk_mul_f32 v[6:7], v[6:7], v[86:87]                      // 00000000B150: D3B14006 1802AD06
	v_pk_mul_f32 v[4:5], v[4:5], s[60:61]                      // 00000000B158: D3B14004 18007904
	v_pk_mul_f32 v[6:7], v[6:7], s[60:61]                      // 00000000B160: D3B14006 18007906
	v_exp_f32_e32 v4, v4                                       // 00000000B168: 7E084104
	v_exp_f32_e32 v5, v5                                       // 00000000B16C: 7E0A4105
	v_exp_f32_e32 v6, v6                                       // 00000000B170: 7E0C4106
	v_exp_f32_e32 v7, v7                                       // 00000000B174: 7E0E4107
	v_add_f32_e64 v4, v4, 1.0                                  // 00000000B178: D1010004 0001E504
	v_add_f32_e64 v5, v5, 1.0                                  // 00000000B180: D1010005 0001E505
	v_add_f32_e64 v6, v6, 1.0                                  // 00000000B188: D1010006 0001E506
	v_add_f32_e64 v7, v7, 1.0                                  // 00000000B190: D1010007 0001E507
	v_rcp_f32_e32 v4, v4                                       // 00000000B198: 7E084504
	v_rcp_f32_e32 v5, v5                                       // 00000000B19C: 7E0A4505
	v_rcp_f32_e32 v6, v6                                       // 00000000B1A0: 7E0C4506
	v_rcp_f32_e32 v7, v7                                       // 00000000B1A4: 7E0E4507
	v_mul_f32_e32 v84, v84, v4                                 // 00000000B1A8: 0AA80954
	v_mul_f32_e32 v85, v85, v5                                 // 00000000B1AC: 0AAA0B55
	v_mul_f32_e32 v86, v86, v6                                 // 00000000B1B0: 0AAC0D56
	v_mul_f32_e32 v87, v87, v7                                 // 00000000B1B4: 0AAE0F57
	v_mul_f32_e32 v84, v84, v156                               // 00000000B1B8: 0AA93954
	v_mul_f32_e32 v85, v85, v157                               // 00000000B1BC: 0AAB3B55
	v_mul_f32_e32 v86, v86, v158                               // 00000000B1C0: 0AAD3D56
	v_mul_f32_e32 v87, v87, v159                               // 00000000B1C4: 0AAF3F57
	v_pk_mul_f32 v[4:5], v[88:89], v[88:89]                    // 00000000B1C8: D3B14004 1802B158
	v_pk_mul_f32 v[6:7], v[90:91], v[90:91]                    // 00000000B1D0: D3B14006 1802B55A
	v_pk_fma_f32 v[4:5], v[4:5], s[78:79], v[8:9]              // 00000000B1D8: D3B04004 1C209D04
	v_pk_fma_f32 v[6:7], v[6:7], s[78:79], v[8:9]              // 00000000B1E0: D3B04006 1C209D06
	v_pk_mul_f32 v[4:5], v[4:5], v[88:89]                      // 00000000B1E8: D3B14004 1802B104
	v_pk_mul_f32 v[6:7], v[6:7], v[90:91]                      // 00000000B1F0: D3B14006 1802B506
	v_pk_mul_f32 v[4:5], v[4:5], s[60:61]                      // 00000000B1F8: D3B14004 18007904
	v_pk_mul_f32 v[6:7], v[6:7], s[60:61]                      // 00000000B200: D3B14006 18007906
	v_exp_f32_e32 v4, v4                                       // 00000000B208: 7E084104
	v_exp_f32_e32 v5, v5                                       // 00000000B20C: 7E0A4105
	v_exp_f32_e32 v6, v6                                       // 00000000B210: 7E0C4106
	v_exp_f32_e32 v7, v7                                       // 00000000B214: 7E0E4107
	v_add_f32_e64 v4, v4, 1.0                                  // 00000000B218: D1010004 0001E504
	v_add_f32_e64 v5, v5, 1.0                                  // 00000000B220: D1010005 0001E505
	v_add_f32_e64 v6, v6, 1.0                                  // 00000000B228: D1010006 0001E506
	v_add_f32_e64 v7, v7, 1.0                                  // 00000000B230: D1010007 0001E507
	v_rcp_f32_e32 v4, v4                                       // 00000000B238: 7E084504
	v_rcp_f32_e32 v5, v5                                       // 00000000B23C: 7E0A4505
	v_rcp_f32_e32 v6, v6                                       // 00000000B240: 7E0C4506
	v_rcp_f32_e32 v7, v7                                       // 00000000B244: 7E0E4507
	v_mul_f32_e32 v88, v88, v4                                 // 00000000B248: 0AB00958
	v_mul_f32_e32 v89, v89, v5                                 // 00000000B24C: 0AB20B59
	v_mul_f32_e32 v90, v90, v6                                 // 00000000B250: 0AB40D5A
	v_mul_f32_e32 v91, v91, v7                                 // 00000000B254: 0AB60F5B
	v_mul_f32_e32 v88, v88, v160                               // 00000000B258: 0AB14158
	v_mul_f32_e32 v89, v89, v161                               // 00000000B25C: 0AB34359
	v_mul_f32_e32 v90, v90, v162                               // 00000000B260: 0AB5455A
	v_mul_f32_e32 v91, v91, v163                               // 00000000B264: 0AB7475B
	v_pk_mul_f32 v[4:5], v[92:93], v[92:93]                    // 00000000B268: D3B14004 1802B95C
	v_pk_mul_f32 v[6:7], v[94:95], v[94:95]                    // 00000000B270: D3B14006 1802BD5E
	v_pk_fma_f32 v[4:5], v[4:5], s[78:79], v[8:9]              // 00000000B278: D3B04004 1C209D04
	v_pk_fma_f32 v[6:7], v[6:7], s[78:79], v[8:9]              // 00000000B280: D3B04006 1C209D06
	v_pk_mul_f32 v[4:5], v[4:5], v[92:93]                      // 00000000B288: D3B14004 1802B904
	v_pk_mul_f32 v[6:7], v[6:7], v[94:95]                      // 00000000B290: D3B14006 1802BD06
	v_pk_mul_f32 v[4:5], v[4:5], s[60:61]                      // 00000000B298: D3B14004 18007904
	v_pk_mul_f32 v[6:7], v[6:7], s[60:61]                      // 00000000B2A0: D3B14006 18007906
	v_exp_f32_e32 v4, v4                                       // 00000000B2A8: 7E084104
	v_exp_f32_e32 v5, v5                                       // 00000000B2AC: 7E0A4105
	v_exp_f32_e32 v6, v6                                       // 00000000B2B0: 7E0C4106
	v_exp_f32_e32 v7, v7                                       // 00000000B2B4: 7E0E4107
	v_add_f32_e64 v4, v4, 1.0                                  // 00000000B2B8: D1010004 0001E504
	v_add_f32_e64 v5, v5, 1.0                                  // 00000000B2C0: D1010005 0001E505
	v_add_f32_e64 v6, v6, 1.0                                  // 00000000B2C8: D1010006 0001E506
	v_add_f32_e64 v7, v7, 1.0                                  // 00000000B2D0: D1010007 0001E507
	v_rcp_f32_e32 v4, v4                                       // 00000000B2D8: 7E084504
	v_rcp_f32_e32 v5, v5                                       // 00000000B2DC: 7E0A4505
	v_rcp_f32_e32 v6, v6                                       // 00000000B2E0: 7E0C4506
	v_rcp_f32_e32 v7, v7                                       // 00000000B2E4: 7E0E4507
	v_mul_f32_e32 v92, v92, v4                                 // 00000000B2E8: 0AB8095C
	v_mul_f32_e32 v93, v93, v5                                 // 00000000B2EC: 0ABA0B5D
	v_mul_f32_e32 v94, v94, v6                                 // 00000000B2F0: 0ABC0D5E
	v_mul_f32_e32 v95, v95, v7                                 // 00000000B2F4: 0ABE0F5F
	v_mul_f32_e32 v92, v92, v164                               // 00000000B2F8: 0AB9495C
	v_mul_f32_e32 v93, v93, v165                               // 00000000B2FC: 0ABB4B5D
	v_mul_f32_e32 v94, v94, v166                               // 00000000B300: 0ABD4D5E
	v_mul_f32_e32 v95, v95, v167                               // 00000000B304: 0ABF4F5F
	v_pk_mul_f32 v[4:5], v[96:97], v[96:97]                    // 00000000B308: D3B14004 1802C160
	v_pk_mul_f32 v[6:7], v[98:99], v[98:99]                    // 00000000B310: D3B14006 1802C562
	v_pk_fma_f32 v[4:5], v[4:5], s[78:79], v[8:9]              // 00000000B318: D3B04004 1C209D04
	v_pk_fma_f32 v[6:7], v[6:7], s[78:79], v[8:9]              // 00000000B320: D3B04006 1C209D06
	v_pk_mul_f32 v[4:5], v[4:5], v[96:97]                      // 00000000B328: D3B14004 1802C104
	v_pk_mul_f32 v[6:7], v[6:7], v[98:99]                      // 00000000B330: D3B14006 1802C506
	v_pk_mul_f32 v[4:5], v[4:5], s[60:61]                      // 00000000B338: D3B14004 18007904
	v_pk_mul_f32 v[6:7], v[6:7], s[60:61]                      // 00000000B340: D3B14006 18007906
	v_exp_f32_e32 v4, v4                                       // 00000000B348: 7E084104
	v_exp_f32_e32 v5, v5                                       // 00000000B34C: 7E0A4105
	v_exp_f32_e32 v6, v6                                       // 00000000B350: 7E0C4106
	v_exp_f32_e32 v7, v7                                       // 00000000B354: 7E0E4107
	v_add_f32_e64 v4, v4, 1.0                                  // 00000000B358: D1010004 0001E504
	v_add_f32_e64 v5, v5, 1.0                                  // 00000000B360: D1010005 0001E505
	v_add_f32_e64 v6, v6, 1.0                                  // 00000000B368: D1010006 0001E506
	v_add_f32_e64 v7, v7, 1.0                                  // 00000000B370: D1010007 0001E507
	v_rcp_f32_e32 v4, v4                                       // 00000000B378: 7E084504
	v_rcp_f32_e32 v5, v5                                       // 00000000B37C: 7E0A4505
	v_rcp_f32_e32 v6, v6                                       // 00000000B380: 7E0C4506
	v_rcp_f32_e32 v7, v7                                       // 00000000B384: 7E0E4507
	v_mul_f32_e32 v96, v96, v4                                 // 00000000B388: 0AC00960
	v_mul_f32_e32 v97, v97, v5                                 // 00000000B38C: 0AC20B61
	v_mul_f32_e32 v98, v98, v6                                 // 00000000B390: 0AC40D62
	v_mul_f32_e32 v99, v99, v7                                 // 00000000B394: 0AC60F63
	v_mul_f32_e32 v96, v96, v168                               // 00000000B398: 0AC15160
	v_mul_f32_e32 v97, v97, v169                               // 00000000B39C: 0AC35361
	v_mul_f32_e32 v98, v98, v170                               // 00000000B3A0: 0AC55562
	v_mul_f32_e32 v99, v99, v171                               // 00000000B3A4: 0AC75763
	v_pk_mul_f32 v[4:5], v[100:101], v[100:101]                // 00000000B3A8: D3B14004 1802C964
	v_pk_mul_f32 v[6:7], v[102:103], v[102:103]                // 00000000B3B0: D3B14006 1802CD66
	v_pk_fma_f32 v[4:5], v[4:5], s[78:79], v[8:9]              // 00000000B3B8: D3B04004 1C209D04
	v_pk_fma_f32 v[6:7], v[6:7], s[78:79], v[8:9]              // 00000000B3C0: D3B04006 1C209D06
	v_pk_mul_f32 v[4:5], v[4:5], v[100:101]                    // 00000000B3C8: D3B14004 1802C904
	v_pk_mul_f32 v[6:7], v[6:7], v[102:103]                    // 00000000B3D0: D3B14006 1802CD06
	v_pk_mul_f32 v[4:5], v[4:5], s[60:61]                      // 00000000B3D8: D3B14004 18007904
	v_pk_mul_f32 v[6:7], v[6:7], s[60:61]                      // 00000000B3E0: D3B14006 18007906
	v_exp_f32_e32 v4, v4                                       // 00000000B3E8: 7E084104
	v_exp_f32_e32 v5, v5                                       // 00000000B3EC: 7E0A4105
	v_exp_f32_e32 v6, v6                                       // 00000000B3F0: 7E0C4106
	v_exp_f32_e32 v7, v7                                       // 00000000B3F4: 7E0E4107
	v_add_f32_e64 v4, v4, 1.0                                  // 00000000B3F8: D1010004 0001E504
	v_add_f32_e64 v5, v5, 1.0                                  // 00000000B400: D1010005 0001E505
	v_add_f32_e64 v6, v6, 1.0                                  // 00000000B408: D1010006 0001E506
	v_add_f32_e64 v7, v7, 1.0                                  // 00000000B410: D1010007 0001E507
	v_rcp_f32_e32 v4, v4                                       // 00000000B418: 7E084504
	v_rcp_f32_e32 v5, v5                                       // 00000000B41C: 7E0A4505
	v_rcp_f32_e32 v6, v6                                       // 00000000B420: 7E0C4506
	v_rcp_f32_e32 v7, v7                                       // 00000000B424: 7E0E4507
	v_mul_f32_e32 v100, v100, v4                               // 00000000B428: 0AC80964
	v_mul_f32_e32 v101, v101, v5                               // 00000000B42C: 0ACA0B65
	v_mul_f32_e32 v102, v102, v6                               // 00000000B430: 0ACC0D66
	v_mul_f32_e32 v103, v103, v7                               // 00000000B434: 0ACE0F67
	v_mul_f32_e32 v100, v100, v172                             // 00000000B438: 0AC95964
	v_mul_f32_e32 v101, v101, v173                             // 00000000B43C: 0ACB5B65
	v_mul_f32_e32 v102, v102, v174                             // 00000000B440: 0ACD5D66
	v_mul_f32_e32 v103, v103, v175                             // 00000000B444: 0ACF5F67
	v_pk_mul_f32 v[4:5], v[104:105], v[104:105]                // 00000000B448: D3B14004 1802D168
	v_pk_mul_f32 v[6:7], v[106:107], v[106:107]                // 00000000B450: D3B14006 1802D56A
	v_pk_fma_f32 v[4:5], v[4:5], s[78:79], v[8:9]              // 00000000B458: D3B04004 1C209D04
	v_pk_fma_f32 v[6:7], v[6:7], s[78:79], v[8:9]              // 00000000B460: D3B04006 1C209D06
	v_pk_mul_f32 v[4:5], v[4:5], v[104:105]                    // 00000000B468: D3B14004 1802D104
	v_pk_mul_f32 v[6:7], v[6:7], v[106:107]                    // 00000000B470: D3B14006 1802D506
	v_pk_mul_f32 v[4:5], v[4:5], s[60:61]                      // 00000000B478: D3B14004 18007904
	v_pk_mul_f32 v[6:7], v[6:7], s[60:61]                      // 00000000B480: D3B14006 18007906
	v_exp_f32_e32 v4, v4                                       // 00000000B488: 7E084104
	v_exp_f32_e32 v5, v5                                       // 00000000B48C: 7E0A4105
	v_exp_f32_e32 v6, v6                                       // 00000000B490: 7E0C4106
	v_exp_f32_e32 v7, v7                                       // 00000000B494: 7E0E4107
	v_add_f32_e64 v4, v4, 1.0                                  // 00000000B498: D1010004 0001E504
	v_add_f32_e64 v5, v5, 1.0                                  // 00000000B4A0: D1010005 0001E505
	v_add_f32_e64 v6, v6, 1.0                                  // 00000000B4A8: D1010006 0001E506
	v_add_f32_e64 v7, v7, 1.0                                  // 00000000B4B0: D1010007 0001E507
	v_rcp_f32_e32 v4, v4                                       // 00000000B4B8: 7E084504
	v_rcp_f32_e32 v5, v5                                       // 00000000B4BC: 7E0A4505
	v_rcp_f32_e32 v6, v6                                       // 00000000B4C0: 7E0C4506
	v_rcp_f32_e32 v7, v7                                       // 00000000B4C4: 7E0E4507
	v_mul_f32_e32 v104, v104, v4                               // 00000000B4C8: 0AD00968
	v_mul_f32_e32 v105, v105, v5                               // 00000000B4CC: 0AD20B69
	v_mul_f32_e32 v106, v106, v6                               // 00000000B4D0: 0AD40D6A
	v_mul_f32_e32 v107, v107, v7                               // 00000000B4D4: 0AD60F6B
	v_mul_f32_e32 v104, v104, v176                             // 00000000B4D8: 0AD16168
	v_mul_f32_e32 v105, v105, v177                             // 00000000B4DC: 0AD36369
	v_mul_f32_e32 v106, v106, v178                             // 00000000B4E0: 0AD5656A
	v_mul_f32_e32 v107, v107, v179                             // 00000000B4E4: 0AD7676B
	v_pk_mul_f32 v[4:5], v[108:109], v[108:109]                // 00000000B4E8: D3B14004 1802D96C
	v_pk_mul_f32 v[6:7], v[110:111], v[110:111]                // 00000000B4F0: D3B14006 1802DD6E
	v_pk_fma_f32 v[4:5], v[4:5], s[78:79], v[8:9]              // 00000000B4F8: D3B04004 1C209D04
	v_pk_fma_f32 v[6:7], v[6:7], s[78:79], v[8:9]              // 00000000B500: D3B04006 1C209D06
	v_pk_mul_f32 v[4:5], v[4:5], v[108:109]                    // 00000000B508: D3B14004 1802D904
	v_pk_mul_f32 v[6:7], v[6:7], v[110:111]                    // 00000000B510: D3B14006 1802DD06
	v_pk_mul_f32 v[4:5], v[4:5], s[60:61]                      // 00000000B518: D3B14004 18007904
	v_pk_mul_f32 v[6:7], v[6:7], s[60:61]                      // 00000000B520: D3B14006 18007906
	v_exp_f32_e32 v4, v4                                       // 00000000B528: 7E084104
	v_exp_f32_e32 v5, v5                                       // 00000000B52C: 7E0A4105
	v_exp_f32_e32 v6, v6                                       // 00000000B530: 7E0C4106
	v_exp_f32_e32 v7, v7                                       // 00000000B534: 7E0E4107
	v_add_f32_e64 v4, v4, 1.0                                  // 00000000B538: D1010004 0001E504
	v_add_f32_e64 v5, v5, 1.0                                  // 00000000B540: D1010005 0001E505
	v_add_f32_e64 v6, v6, 1.0                                  // 00000000B548: D1010006 0001E506
	v_add_f32_e64 v7, v7, 1.0                                  // 00000000B550: D1010007 0001E507
	v_rcp_f32_e32 v4, v4                                       // 00000000B558: 7E084504
	v_rcp_f32_e32 v5, v5                                       // 00000000B55C: 7E0A4505
	v_rcp_f32_e32 v6, v6                                       // 00000000B560: 7E0C4506
	v_rcp_f32_e32 v7, v7                                       // 00000000B564: 7E0E4507
	v_mul_f32_e32 v108, v108, v4                               // 00000000B568: 0AD8096C
	v_mul_f32_e32 v109, v109, v5                               // 00000000B56C: 0ADA0B6D
	v_mul_f32_e32 v110, v110, v6                               // 00000000B570: 0ADC0D6E
	v_mul_f32_e32 v111, v111, v7                               // 00000000B574: 0ADE0F6F
	v_mul_f32_e32 v108, v108, v180                             // 00000000B578: 0AD9696C
	v_mul_f32_e32 v109, v109, v181                             // 00000000B57C: 0ADB6B6D
	v_mul_f32_e32 v110, v110, v182                             // 00000000B580: 0ADD6D6E
	v_mul_f32_e32 v111, v111, v183                             // 00000000B584: 0ADF6F6F
	v_pk_mul_f32 v[4:5], v[112:113], v[112:113]                // 00000000B588: D3B14004 1802E170
	v_pk_mul_f32 v[6:7], v[114:115], v[114:115]                // 00000000B590: D3B14006 1802E572
	v_pk_fma_f32 v[4:5], v[4:5], s[78:79], v[8:9]              // 00000000B598: D3B04004 1C209D04
	v_pk_fma_f32 v[6:7], v[6:7], s[78:79], v[8:9]              // 00000000B5A0: D3B04006 1C209D06
	v_pk_mul_f32 v[4:5], v[4:5], v[112:113]                    // 00000000B5A8: D3B14004 1802E104
	v_pk_mul_f32 v[6:7], v[6:7], v[114:115]                    // 00000000B5B0: D3B14006 1802E506
	v_pk_mul_f32 v[4:5], v[4:5], s[60:61]                      // 00000000B5B8: D3B14004 18007904
	v_pk_mul_f32 v[6:7], v[6:7], s[60:61]                      // 00000000B5C0: D3B14006 18007906
	v_exp_f32_e32 v4, v4                                       // 00000000B5C8: 7E084104
	v_exp_f32_e32 v5, v5                                       // 00000000B5CC: 7E0A4105
	v_exp_f32_e32 v6, v6                                       // 00000000B5D0: 7E0C4106
	v_exp_f32_e32 v7, v7                                       // 00000000B5D4: 7E0E4107
	v_add_f32_e64 v4, v4, 1.0                                  // 00000000B5D8: D1010004 0001E504
	v_add_f32_e64 v5, v5, 1.0                                  // 00000000B5E0: D1010005 0001E505
	v_add_f32_e64 v6, v6, 1.0                                  // 00000000B5E8: D1010006 0001E506
	v_add_f32_e64 v7, v7, 1.0                                  // 00000000B5F0: D1010007 0001E507
	v_rcp_f32_e32 v4, v4                                       // 00000000B5F8: 7E084504
	v_rcp_f32_e32 v5, v5                                       // 00000000B5FC: 7E0A4505
	v_rcp_f32_e32 v6, v6                                       // 00000000B600: 7E0C4506
	v_rcp_f32_e32 v7, v7                                       // 00000000B604: 7E0E4507
	v_mul_f32_e32 v112, v112, v4                               // 00000000B608: 0AE00970
	v_mul_f32_e32 v113, v113, v5                               // 00000000B60C: 0AE20B71
	v_mul_f32_e32 v114, v114, v6                               // 00000000B610: 0AE40D72
	v_mul_f32_e32 v115, v115, v7                               // 00000000B614: 0AE60F73
	v_mul_f32_e32 v112, v112, v184                             // 00000000B618: 0AE17170
	v_mul_f32_e32 v113, v113, v185                             // 00000000B61C: 0AE37371
	v_mul_f32_e32 v114, v114, v186                             // 00000000B620: 0AE57572
	v_mul_f32_e32 v115, v115, v187                             // 00000000B624: 0AE77773
	v_pk_mul_f32 v[4:5], v[116:117], v[116:117]                // 00000000B628: D3B14004 1802E974
	v_pk_mul_f32 v[6:7], v[118:119], v[118:119]                // 00000000B630: D3B14006 1802ED76
	v_pk_fma_f32 v[4:5], v[4:5], s[78:79], v[8:9]              // 00000000B638: D3B04004 1C209D04
	v_pk_fma_f32 v[6:7], v[6:7], s[78:79], v[8:9]              // 00000000B640: D3B04006 1C209D06
	v_pk_mul_f32 v[4:5], v[4:5], v[116:117]                    // 00000000B648: D3B14004 1802E904
	v_pk_mul_f32 v[6:7], v[6:7], v[118:119]                    // 00000000B650: D3B14006 1802ED06
	v_pk_mul_f32 v[4:5], v[4:5], s[60:61]                      // 00000000B658: D3B14004 18007904
	v_pk_mul_f32 v[6:7], v[6:7], s[60:61]                      // 00000000B660: D3B14006 18007906
	v_exp_f32_e32 v4, v4                                       // 00000000B668: 7E084104
	v_exp_f32_e32 v5, v5                                       // 00000000B66C: 7E0A4105
	v_exp_f32_e32 v6, v6                                       // 00000000B670: 7E0C4106
	v_exp_f32_e32 v7, v7                                       // 00000000B674: 7E0E4107
	v_add_f32_e64 v4, v4, 1.0                                  // 00000000B678: D1010004 0001E504
	v_add_f32_e64 v5, v5, 1.0                                  // 00000000B680: D1010005 0001E505
	v_add_f32_e64 v6, v6, 1.0                                  // 00000000B688: D1010006 0001E506
	v_add_f32_e64 v7, v7, 1.0                                  // 00000000B690: D1010007 0001E507
	v_rcp_f32_e32 v4, v4                                       // 00000000B698: 7E084504
	v_rcp_f32_e32 v5, v5                                       // 00000000B69C: 7E0A4505
	v_rcp_f32_e32 v6, v6                                       // 00000000B6A0: 7E0C4506
	v_rcp_f32_e32 v7, v7                                       // 00000000B6A4: 7E0E4507
	v_mul_f32_e32 v116, v116, v4                               // 00000000B6A8: 0AE80974
	v_mul_f32_e32 v117, v117, v5                               // 00000000B6AC: 0AEA0B75
	v_mul_f32_e32 v118, v118, v6                               // 00000000B6B0: 0AEC0D76
	v_mul_f32_e32 v119, v119, v7                               // 00000000B6B4: 0AEE0F77
	v_mul_f32_e32 v116, v116, v188                             // 00000000B6B8: 0AE97974
	v_mul_f32_e32 v117, v117, v189                             // 00000000B6BC: 0AEB7B75
	v_mul_f32_e32 v118, v118, v190                             // 00000000B6C0: 0AED7D76
	v_mul_f32_e32 v119, v119, v191                             // 00000000B6C4: 0AEF7F77
	v_pk_mul_f32 v[4:5], v[120:121], v[120:121]                // 00000000B6C8: D3B14004 1802F178
	v_pk_mul_f32 v[6:7], v[122:123], v[122:123]                // 00000000B6D0: D3B14006 1802F57A
	v_pk_fma_f32 v[4:5], v[4:5], s[78:79], v[8:9]              // 00000000B6D8: D3B04004 1C209D04
	v_pk_fma_f32 v[6:7], v[6:7], s[78:79], v[8:9]              // 00000000B6E0: D3B04006 1C209D06
	v_pk_mul_f32 v[4:5], v[4:5], v[120:121]                    // 00000000B6E8: D3B14004 1802F104
	v_pk_mul_f32 v[6:7], v[6:7], v[122:123]                    // 00000000B6F0: D3B14006 1802F506
	v_pk_mul_f32 v[4:5], v[4:5], s[60:61]                      // 00000000B6F8: D3B14004 18007904
	v_pk_mul_f32 v[6:7], v[6:7], s[60:61]                      // 00000000B700: D3B14006 18007906
	v_exp_f32_e32 v4, v4                                       // 00000000B708: 7E084104
	v_exp_f32_e32 v5, v5                                       // 00000000B70C: 7E0A4105
	v_exp_f32_e32 v6, v6                                       // 00000000B710: 7E0C4106
	v_exp_f32_e32 v7, v7                                       // 00000000B714: 7E0E4107
	v_add_f32_e64 v4, v4, 1.0                                  // 00000000B718: D1010004 0001E504
	v_add_f32_e64 v5, v5, 1.0                                  // 00000000B720: D1010005 0001E505
	v_add_f32_e64 v6, v6, 1.0                                  // 00000000B728: D1010006 0001E506
	v_add_f32_e64 v7, v7, 1.0                                  // 00000000B730: D1010007 0001E507
	v_rcp_f32_e32 v4, v4                                       // 00000000B738: 7E084504
	v_rcp_f32_e32 v5, v5                                       // 00000000B73C: 7E0A4505
	v_rcp_f32_e32 v6, v6                                       // 00000000B740: 7E0C4506
	v_rcp_f32_e32 v7, v7                                       // 00000000B744: 7E0E4507
	v_mul_f32_e32 v120, v120, v4                               // 00000000B748: 0AF00978
	v_mul_f32_e32 v121, v121, v5                               // 00000000B74C: 0AF20B79
	v_mul_f32_e32 v122, v122, v6                               // 00000000B750: 0AF40D7A
	v_mul_f32_e32 v123, v123, v7                               // 00000000B754: 0AF60F7B
	v_mul_f32_e32 v120, v120, v192                             // 00000000B758: 0AF18178
	v_mul_f32_e32 v121, v121, v193                             // 00000000B75C: 0AF38379
	v_mul_f32_e32 v122, v122, v194                             // 00000000B760: 0AF5857A
	v_mul_f32_e32 v123, v123, v195                             // 00000000B764: 0AF7877B
	v_pk_mul_f32 v[4:5], v[124:125], v[124:125]                // 00000000B768: D3B14004 1802F97C
	v_pk_mul_f32 v[6:7], v[126:127], v[126:127]                // 00000000B770: D3B14006 1802FD7E
	v_pk_fma_f32 v[4:5], v[4:5], s[78:79], v[8:9]              // 00000000B778: D3B04004 1C209D04
	v_pk_fma_f32 v[6:7], v[6:7], s[78:79], v[8:9]              // 00000000B780: D3B04006 1C209D06
	v_pk_mul_f32 v[4:5], v[4:5], v[124:125]                    // 00000000B788: D3B14004 1802F904
	v_pk_mul_f32 v[6:7], v[6:7], v[126:127]                    // 00000000B790: D3B14006 1802FD06
	v_pk_mul_f32 v[4:5], v[4:5], s[60:61]                      // 00000000B798: D3B14004 18007904
	v_pk_mul_f32 v[6:7], v[6:7], s[60:61]                      // 00000000B7A0: D3B14006 18007906
	v_exp_f32_e32 v4, v4                                       // 00000000B7A8: 7E084104
	v_exp_f32_e32 v5, v5                                       // 00000000B7AC: 7E0A4105
	v_exp_f32_e32 v6, v6                                       // 00000000B7B0: 7E0C4106
	v_exp_f32_e32 v7, v7                                       // 00000000B7B4: 7E0E4107
	v_add_f32_e64 v4, v4, 1.0                                  // 00000000B7B8: D1010004 0001E504
	v_add_f32_e64 v5, v5, 1.0                                  // 00000000B7C0: D1010005 0001E505
	v_add_f32_e64 v6, v6, 1.0                                  // 00000000B7C8: D1010006 0001E506
	v_add_f32_e64 v7, v7, 1.0                                  // 00000000B7D0: D1010007 0001E507
	v_rcp_f32_e32 v4, v4                                       // 00000000B7D8: 7E084504
	v_rcp_f32_e32 v5, v5                                       // 00000000B7DC: 7E0A4505
	v_rcp_f32_e32 v6, v6                                       // 00000000B7E0: 7E0C4506
	v_rcp_f32_e32 v7, v7                                       // 00000000B7E4: 7E0E4507
	v_mul_f32_e32 v124, v124, v4                               // 00000000B7E8: 0AF8097C
	v_mul_f32_e32 v125, v125, v5                               // 00000000B7EC: 0AFA0B7D
	v_mul_f32_e32 v126, v126, v6                               // 00000000B7F0: 0AFC0D7E
	v_mul_f32_e32 v127, v127, v7                               // 00000000B7F4: 0AFE0F7F
	v_mul_f32_e32 v124, v124, v196                             // 00000000B7F8: 0AF9897C
	v_mul_f32_e32 v125, v125, v197                             // 00000000B7FC: 0AFB8B7D
	v_mul_f32_e32 v126, v126, v198                             // 00000000B800: 0AFD8D7E
	v_mul_f32_e32 v127, v127, v199                             // 00000000B804: 0AFF8F7F
	v_pk_mul_f32 v[4:5], v[128:129], v[128:129]                // 00000000B808: D3B14004 18030180
	v_pk_mul_f32 v[6:7], v[130:131], v[130:131]                // 00000000B810: D3B14006 18030582
	v_pk_fma_f32 v[4:5], v[4:5], s[78:79], v[8:9]              // 00000000B818: D3B04004 1C209D04
	v_pk_fma_f32 v[6:7], v[6:7], s[78:79], v[8:9]              // 00000000B820: D3B04006 1C209D06
	v_pk_mul_f32 v[4:5], v[4:5], v[128:129]                    // 00000000B828: D3B14004 18030104
	v_pk_mul_f32 v[6:7], v[6:7], v[130:131]                    // 00000000B830: D3B14006 18030506
	v_pk_mul_f32 v[4:5], v[4:5], s[60:61]                      // 00000000B838: D3B14004 18007904
	v_pk_mul_f32 v[6:7], v[6:7], s[60:61]                      // 00000000B840: D3B14006 18007906
	v_exp_f32_e32 v4, v4                                       // 00000000B848: 7E084104
	v_exp_f32_e32 v5, v5                                       // 00000000B84C: 7E0A4105
	v_exp_f32_e32 v6, v6                                       // 00000000B850: 7E0C4106
	v_exp_f32_e32 v7, v7                                       // 00000000B854: 7E0E4107
	v_add_f32_e64 v4, v4, 1.0                                  // 00000000B858: D1010004 0001E504
	v_add_f32_e64 v5, v5, 1.0                                  // 00000000B860: D1010005 0001E505
	v_add_f32_e64 v6, v6, 1.0                                  // 00000000B868: D1010006 0001E506
	v_add_f32_e64 v7, v7, 1.0                                  // 00000000B870: D1010007 0001E507
	v_rcp_f32_e32 v4, v4                                       // 00000000B878: 7E084504
	v_rcp_f32_e32 v5, v5                                       // 00000000B87C: 7E0A4505
	v_rcp_f32_e32 v6, v6                                       // 00000000B880: 7E0C4506
	v_rcp_f32_e32 v7, v7                                       // 00000000B884: 7E0E4507
	v_mul_f32_e32 v128, v128, v4                               // 00000000B888: 0B000980
	v_mul_f32_e32 v129, v129, v5                               // 00000000B88C: 0B020B81
	v_mul_f32_e32 v130, v130, v6                               // 00000000B890: 0B040D82
	v_mul_f32_e32 v131, v131, v7                               // 00000000B894: 0B060F83
	v_mul_f32_e32 v128, v128, v200                             // 00000000B898: 0B019180
	v_mul_f32_e32 v129, v129, v201                             // 00000000B89C: 0B039381
	v_mul_f32_e32 v130, v130, v202                             // 00000000B8A0: 0B059582
	v_mul_f32_e32 v131, v131, v203                             // 00000000B8A4: 0B079783
	v_pk_mul_f32 v[4:5], v[132:133], v[132:133]                // 00000000B8A8: D3B14004 18030984
	v_pk_mul_f32 v[6:7], v[134:135], v[134:135]                // 00000000B8B0: D3B14006 18030D86
	v_pk_fma_f32 v[4:5], v[4:5], s[78:79], v[8:9]              // 00000000B8B8: D3B04004 1C209D04
	v_pk_fma_f32 v[6:7], v[6:7], s[78:79], v[8:9]              // 00000000B8C0: D3B04006 1C209D06
	v_pk_mul_f32 v[4:5], v[4:5], v[132:133]                    // 00000000B8C8: D3B14004 18030904
	v_pk_mul_f32 v[6:7], v[6:7], v[134:135]                    // 00000000B8D0: D3B14006 18030D06
	v_pk_mul_f32 v[4:5], v[4:5], s[60:61]                      // 00000000B8D8: D3B14004 18007904
	v_pk_mul_f32 v[6:7], v[6:7], s[60:61]                      // 00000000B8E0: D3B14006 18007906
	v_exp_f32_e32 v4, v4                                       // 00000000B8E8: 7E084104
	v_exp_f32_e32 v5, v5                                       // 00000000B8EC: 7E0A4105
	v_exp_f32_e32 v6, v6                                       // 00000000B8F0: 7E0C4106
	v_exp_f32_e32 v7, v7                                       // 00000000B8F4: 7E0E4107
	v_add_f32_e64 v4, v4, 1.0                                  // 00000000B8F8: D1010004 0001E504
	v_add_f32_e64 v5, v5, 1.0                                  // 00000000B900: D1010005 0001E505
	v_add_f32_e64 v6, v6, 1.0                                  // 00000000B908: D1010006 0001E506
	v_add_f32_e64 v7, v7, 1.0                                  // 00000000B910: D1010007 0001E507
	v_rcp_f32_e32 v4, v4                                       // 00000000B918: 7E084504
	v_rcp_f32_e32 v5, v5                                       // 00000000B91C: 7E0A4505
	v_rcp_f32_e32 v6, v6                                       // 00000000B920: 7E0C4506
	v_rcp_f32_e32 v7, v7                                       // 00000000B924: 7E0E4507
	v_mul_f32_e32 v132, v132, v4                               // 00000000B928: 0B080984
	v_mul_f32_e32 v133, v133, v5                               // 00000000B92C: 0B0A0B85
	v_mul_f32_e32 v134, v134, v6                               // 00000000B930: 0B0C0D86
	v_mul_f32_e32 v135, v135, v7                               // 00000000B934: 0B0E0F87
	v_mul_f32_e32 v132, v132, v204                             // 00000000B938: 0B099984
	v_mul_f32_e32 v133, v133, v205                             // 00000000B93C: 0B0B9B85
	v_mul_f32_e32 v134, v134, v206                             // 00000000B940: 0B0D9D86
	v_mul_f32_e32 v135, v135, v207                             // 00000000B944: 0B0F9F87
	v_pk_mul_f32 v[4:5], v[136:137], v[136:137]                // 00000000B948: D3B14004 18031188
	v_pk_mul_f32 v[6:7], v[138:139], v[138:139]                // 00000000B950: D3B14006 1803158A
	v_pk_fma_f32 v[4:5], v[4:5], s[78:79], v[8:9]              // 00000000B958: D3B04004 1C209D04
	v_pk_fma_f32 v[6:7], v[6:7], s[78:79], v[8:9]              // 00000000B960: D3B04006 1C209D06
	v_pk_mul_f32 v[4:5], v[4:5], v[136:137]                    // 00000000B968: D3B14004 18031104
	v_pk_mul_f32 v[6:7], v[6:7], v[138:139]                    // 00000000B970: D3B14006 18031506
	v_pk_mul_f32 v[4:5], v[4:5], s[60:61]                      // 00000000B978: D3B14004 18007904
	v_pk_mul_f32 v[6:7], v[6:7], s[60:61]                      // 00000000B980: D3B14006 18007906
	v_exp_f32_e32 v4, v4                                       // 00000000B988: 7E084104
	v_exp_f32_e32 v5, v5                                       // 00000000B98C: 7E0A4105
	v_exp_f32_e32 v6, v6                                       // 00000000B990: 7E0C4106
	v_exp_f32_e32 v7, v7                                       // 00000000B994: 7E0E4107
	v_add_f32_e64 v4, v4, 1.0                                  // 00000000B998: D1010004 0001E504
	v_add_f32_e64 v5, v5, 1.0                                  // 00000000B9A0: D1010005 0001E505
	v_add_f32_e64 v6, v6, 1.0                                  // 00000000B9A8: D1010006 0001E506
	v_add_f32_e64 v7, v7, 1.0                                  // 00000000B9B0: D1010007 0001E507
	v_rcp_f32_e32 v4, v4                                       // 00000000B9B8: 7E084504
	v_rcp_f32_e32 v5, v5                                       // 00000000B9BC: 7E0A4505
	v_rcp_f32_e32 v6, v6                                       // 00000000B9C0: 7E0C4506
	v_rcp_f32_e32 v7, v7                                       // 00000000B9C4: 7E0E4507
	v_mul_f32_e32 v136, v136, v4                               // 00000000B9C8: 0B100988
	v_mul_f32_e32 v137, v137, v5                               // 00000000B9CC: 0B120B89
	v_mul_f32_e32 v138, v138, v6                               // 00000000B9D0: 0B140D8A
	v_mul_f32_e32 v139, v139, v7                               // 00000000B9D4: 0B160F8B
	v_mul_f32_e32 v136, v136, v208                             // 00000000B9D8: 0B11A188
	v_mul_f32_e32 v137, v137, v209                             // 00000000B9DC: 0B13A389
	v_mul_f32_e32 v138, v138, v210                             // 00000000B9E0: 0B15A58A
	v_mul_f32_e32 v139, v139, v211                             // 00000000B9E4: 0B17A78B
	v_pk_mul_f32 v[4:5], v[140:141], v[140:141]                // 00000000B9E8: D3B14004 1803198C
	v_pk_mul_f32 v[6:7], v[142:143], v[142:143]                // 00000000B9F0: D3B14006 18031D8E
	v_pk_fma_f32 v[4:5], v[4:5], s[78:79], v[8:9]              // 00000000B9F8: D3B04004 1C209D04
	v_pk_fma_f32 v[6:7], v[6:7], s[78:79], v[8:9]              // 00000000BA00: D3B04006 1C209D06
	v_pk_mul_f32 v[4:5], v[4:5], v[140:141]                    // 00000000BA08: D3B14004 18031904
	v_pk_mul_f32 v[6:7], v[6:7], v[142:143]                    // 00000000BA10: D3B14006 18031D06
	v_pk_mul_f32 v[4:5], v[4:5], s[60:61]                      // 00000000BA18: D3B14004 18007904
	v_pk_mul_f32 v[6:7], v[6:7], s[60:61]                      // 00000000BA20: D3B14006 18007906
	v_exp_f32_e32 v4, v4                                       // 00000000BA28: 7E084104
	v_exp_f32_e32 v5, v5                                       // 00000000BA2C: 7E0A4105
	v_exp_f32_e32 v6, v6                                       // 00000000BA30: 7E0C4106
	v_exp_f32_e32 v7, v7                                       // 00000000BA34: 7E0E4107
	v_add_f32_e64 v4, v4, 1.0                                  // 00000000BA38: D1010004 0001E504
	v_add_f32_e64 v5, v5, 1.0                                  // 00000000BA40: D1010005 0001E505
	v_add_f32_e64 v6, v6, 1.0                                  // 00000000BA48: D1010006 0001E506
	v_add_f32_e64 v7, v7, 1.0                                  // 00000000BA50: D1010007 0001E507
	v_rcp_f32_e32 v4, v4                                       // 00000000BA58: 7E084504
	v_rcp_f32_e32 v5, v5                                       // 00000000BA5C: 7E0A4505
	v_rcp_f32_e32 v6, v6                                       // 00000000BA60: 7E0C4506
	v_rcp_f32_e32 v7, v7                                       // 00000000BA64: 7E0E4507
	v_mul_f32_e32 v140, v140, v4                               // 00000000BA68: 0B18098C
	v_mul_f32_e32 v141, v141, v5                               // 00000000BA6C: 0B1A0B8D
	v_mul_f32_e32 v142, v142, v6                               // 00000000BA70: 0B1C0D8E
	v_mul_f32_e32 v143, v143, v7                               // 00000000BA74: 0B1E0F8F
	v_mul_f32_e32 v140, v140, v212                             // 00000000BA78: 0B19A98C
	v_mul_f32_e32 v141, v141, v213                             // 00000000BA7C: 0B1BAB8D
	v_mul_f32_e32 v142, v142, v214                             // 00000000BA80: 0B1DAD8E
	v_mul_f32_e32 v143, v143, v215                             // 00000000BA84: 0B1FAF8F
	v_pk_mul_f32 v[4:5], v[144:145], v[144:145]                // 00000000BA88: D3B14004 18032190
	v_pk_mul_f32 v[6:7], v[146:147], v[146:147]                // 00000000BA90: D3B14006 18032592
	v_pk_fma_f32 v[4:5], v[4:5], s[78:79], v[8:9]              // 00000000BA98: D3B04004 1C209D04
	v_pk_fma_f32 v[6:7], v[6:7], s[78:79], v[8:9]              // 00000000BAA0: D3B04006 1C209D06
	v_pk_mul_f32 v[4:5], v[4:5], v[144:145]                    // 00000000BAA8: D3B14004 18032104
	v_pk_mul_f32 v[6:7], v[6:7], v[146:147]                    // 00000000BAB0: D3B14006 18032506
	v_pk_mul_f32 v[4:5], v[4:5], s[60:61]                      // 00000000BAB8: D3B14004 18007904
	v_pk_mul_f32 v[6:7], v[6:7], s[60:61]                      // 00000000BAC0: D3B14006 18007906
	v_exp_f32_e32 v4, v4                                       // 00000000BAC8: 7E084104
	v_exp_f32_e32 v5, v5                                       // 00000000BACC: 7E0A4105
	v_exp_f32_e32 v6, v6                                       // 00000000BAD0: 7E0C4106
	v_exp_f32_e32 v7, v7                                       // 00000000BAD4: 7E0E4107
	v_add_f32_e64 v4, v4, 1.0                                  // 00000000BAD8: D1010004 0001E504
	v_add_f32_e64 v5, v5, 1.0                                  // 00000000BAE0: D1010005 0001E505
	v_add_f32_e64 v6, v6, 1.0                                  // 00000000BAE8: D1010006 0001E506
	v_add_f32_e64 v7, v7, 1.0                                  // 00000000BAF0: D1010007 0001E507
	v_rcp_f32_e32 v4, v4                                       // 00000000BAF8: 7E084504
	v_rcp_f32_e32 v5, v5                                       // 00000000BAFC: 7E0A4505
	v_rcp_f32_e32 v6, v6                                       // 00000000BB00: 7E0C4506
	v_rcp_f32_e32 v7, v7                                       // 00000000BB04: 7E0E4507
	v_mul_f32_e32 v144, v144, v4                               // 00000000BB08: 0B200990
	v_mul_f32_e32 v145, v145, v5                               // 00000000BB0C: 0B220B91
	v_mul_f32_e32 v146, v146, v6                               // 00000000BB10: 0B240D92
	v_mul_f32_e32 v147, v147, v7                               // 00000000BB14: 0B260F93
	v_mul_f32_e32 v144, v144, v216                             // 00000000BB18: 0B21B190
	v_mul_f32_e32 v145, v145, v217                             // 00000000BB1C: 0B23B391
	v_mul_f32_e32 v146, v146, v218                             // 00000000BB20: 0B25B592
	v_mul_f32_e32 v147, v147, v219                             // 00000000BB24: 0B27B793
	v_pk_mul_f32 v[4:5], v[148:149], v[148:149]                // 00000000BB28: D3B14004 18032994
	v_pk_mul_f32 v[6:7], v[150:151], v[150:151]                // 00000000BB30: D3B14006 18032D96
	v_pk_fma_f32 v[4:5], v[4:5], s[78:79], v[8:9]              // 00000000BB38: D3B04004 1C209D04
	v_pk_fma_f32 v[6:7], v[6:7], s[78:79], v[8:9]              // 00000000BB40: D3B04006 1C209D06
	v_pk_mul_f32 v[4:5], v[4:5], v[148:149]                    // 00000000BB48: D3B14004 18032904
	v_pk_mul_f32 v[6:7], v[6:7], v[150:151]                    // 00000000BB50: D3B14006 18032D06
	v_pk_mul_f32 v[4:5], v[4:5], s[60:61]                      // 00000000BB58: D3B14004 18007904
	v_pk_mul_f32 v[6:7], v[6:7], s[60:61]                      // 00000000BB60: D3B14006 18007906
	v_exp_f32_e32 v4, v4                                       // 00000000BB68: 7E084104
	v_exp_f32_e32 v5, v5                                       // 00000000BB6C: 7E0A4105
	v_exp_f32_e32 v6, v6                                       // 00000000BB70: 7E0C4106
	v_exp_f32_e32 v7, v7                                       // 00000000BB74: 7E0E4107
	v_add_f32_e64 v4, v4, 1.0                                  // 00000000BB78: D1010004 0001E504
	v_add_f32_e64 v5, v5, 1.0                                  // 00000000BB80: D1010005 0001E505
	v_add_f32_e64 v6, v6, 1.0                                  // 00000000BB88: D1010006 0001E506
	v_add_f32_e64 v7, v7, 1.0                                  // 00000000BB90: D1010007 0001E507
	v_rcp_f32_e32 v4, v4                                       // 00000000BB98: 7E084504
	v_rcp_f32_e32 v5, v5                                       // 00000000BB9C: 7E0A4505
	v_rcp_f32_e32 v6, v6                                       // 00000000BBA0: 7E0C4506
	v_rcp_f32_e32 v7, v7                                       // 00000000BBA4: 7E0E4507
	v_mul_f32_e32 v148, v148, v4                               // 00000000BBA8: 0B280994
	v_mul_f32_e32 v149, v149, v5                               // 00000000BBAC: 0B2A0B95
	v_mul_f32_e32 v150, v150, v6                               // 00000000BBB0: 0B2C0D96
	v_mul_f32_e32 v151, v151, v7                               // 00000000BBB4: 0B2E0F97
	v_mul_f32_e32 v148, v148, v220                             // 00000000BBB8: 0B29B994
	v_mul_f32_e32 v149, v149, v221                             // 00000000BBBC: 0B2BBB95
	v_mul_f32_e32 v150, v150, v222                             // 00000000BBC0: 0B2DBD96
	v_mul_f32_e32 v151, v151, v223                             // 00000000BBC4: 0B2FBF97
	v_pk_mul_f32 v[4:5], v[152:153], v[152:153]                // 00000000BBC8: D3B14004 18033198
	v_pk_mul_f32 v[6:7], v[154:155], v[154:155]                // 00000000BBD0: D3B14006 1803359A
	v_pk_fma_f32 v[4:5], v[4:5], s[78:79], v[8:9]              // 00000000BBD8: D3B04004 1C209D04
	v_pk_fma_f32 v[6:7], v[6:7], s[78:79], v[8:9]              // 00000000BBE0: D3B04006 1C209D06
	v_pk_mul_f32 v[4:5], v[4:5], v[152:153]                    // 00000000BBE8: D3B14004 18033104
	v_pk_mul_f32 v[6:7], v[6:7], v[154:155]                    // 00000000BBF0: D3B14006 18033506
	v_pk_mul_f32 v[4:5], v[4:5], s[60:61]                      // 00000000BBF8: D3B14004 18007904
	v_pk_mul_f32 v[6:7], v[6:7], s[60:61]                      // 00000000BC00: D3B14006 18007906
	v_exp_f32_e32 v4, v4                                       // 00000000BC08: 7E084104
	v_exp_f32_e32 v5, v5                                       // 00000000BC0C: 7E0A4105
	v_exp_f32_e32 v6, v6                                       // 00000000BC10: 7E0C4106
	v_exp_f32_e32 v7, v7                                       // 00000000BC14: 7E0E4107
	v_add_f32_e64 v4, v4, 1.0                                  // 00000000BC18: D1010004 0001E504
	v_add_f32_e64 v5, v5, 1.0                                  // 00000000BC20: D1010005 0001E505
	v_add_f32_e64 v6, v6, 1.0                                  // 00000000BC28: D1010006 0001E506
	v_add_f32_e64 v7, v7, 1.0                                  // 00000000BC30: D1010007 0001E507
	v_rcp_f32_e32 v4, v4                                       // 00000000BC38: 7E084504
	v_rcp_f32_e32 v5, v5                                       // 00000000BC3C: 7E0A4505
	v_rcp_f32_e32 v6, v6                                       // 00000000BC40: 7E0C4506
	v_rcp_f32_e32 v7, v7                                       // 00000000BC44: 7E0E4507
	v_mul_f32_e32 v152, v152, v4                               // 00000000BC48: 0B300998
	v_mul_f32_e32 v153, v153, v5                               // 00000000BC4C: 0B320B99
	v_mul_f32_e32 v154, v154, v6                               // 00000000BC50: 0B340D9A
	v_mul_f32_e32 v155, v155, v7                               // 00000000BC54: 0B360F9B
	v_mul_f32_e32 v152, v152, v224                             // 00000000BC58: 0B31C198
	v_mul_f32_e32 v153, v153, v225                             // 00000000BC5C: 0B33C399
	v_mul_f32_e32 v154, v154, v226                             // 00000000BC60: 0B35C59A
	v_mul_f32_e32 v155, v155, v227                             // 00000000BC64: 0B37C79B
	s_branch label_26DE                                        // 00000000BC68: BF820240

000000000000bc6c <label_249E>:
	v_mul_f32_e64 v4, -v84, s6                                 // 00000000BC6C: D1050004 20000D54
	v_mul_f32_e64 v5, -v85, s6                                 // 00000000BC74: D1050005 20000D55
	v_mul_f32_e64 v6, -v86, s6                                 // 00000000BC7C: D1050006 20000D56
	v_mul_f32_e64 v7, -v87, s6                                 // 00000000BC84: D1050007 20000D57
	v_exp_f32_e32 v4, v4                                       // 00000000BC8C: 7E084104
	v_exp_f32_e32 v5, v5                                       // 00000000BC90: 7E0A4105
	v_exp_f32_e32 v6, v6                                       // 00000000BC94: 7E0C4106
	v_exp_f32_e32 v7, v7                                       // 00000000BC98: 7E0E4107
	v_add_f32_e64 v4, v4, 1.0                                  // 00000000BC9C: D1010004 0001E504
	v_add_f32_e64 v5, v5, 1.0                                  // 00000000BCA4: D1010005 0001E505
	v_add_f32_e64 v6, v6, 1.0                                  // 00000000BCAC: D1010006 0001E506
	v_add_f32_e64 v7, v7, 1.0                                  // 00000000BCB4: D1010007 0001E507
	v_rcp_f32_e32 v4, v4                                       // 00000000BCBC: 7E084504
	v_rcp_f32_e32 v5, v5                                       // 00000000BCC0: 7E0A4505
	v_rcp_f32_e32 v6, v6                                       // 00000000BCC4: 7E0C4506
	v_rcp_f32_e32 v7, v7                                       // 00000000BCC8: 7E0E4507
	v_mul_f32_e32 v84, v84, v4                                 // 00000000BCCC: 0AA80954
	v_mul_f32_e32 v85, v85, v5                                 // 00000000BCD0: 0AAA0B55
	v_mul_f32_e32 v86, v86, v6                                 // 00000000BCD4: 0AAC0D56
	v_mul_f32_e32 v87, v87, v7                                 // 00000000BCD8: 0AAE0F57
	v_mul_f32_e32 v84, v84, v156                               // 00000000BCDC: 0AA93954
	v_mul_f32_e32 v85, v85, v157                               // 00000000BCE0: 0AAB3B55
	v_mul_f32_e32 v86, v86, v158                               // 00000000BCE4: 0AAD3D56
	v_mul_f32_e32 v87, v87, v159                               // 00000000BCE8: 0AAF3F57
	v_mul_f32_e64 v4, -v88, s6                                 // 00000000BCEC: D1050004 20000D58
	v_mul_f32_e64 v5, -v89, s6                                 // 00000000BCF4: D1050005 20000D59
	v_mul_f32_e64 v6, -v90, s6                                 // 00000000BCFC: D1050006 20000D5A
	v_mul_f32_e64 v7, -v91, s6                                 // 00000000BD04: D1050007 20000D5B
	v_exp_f32_e32 v4, v4                                       // 00000000BD0C: 7E084104
	v_exp_f32_e32 v5, v5                                       // 00000000BD10: 7E0A4105
	v_exp_f32_e32 v6, v6                                       // 00000000BD14: 7E0C4106
	v_exp_f32_e32 v7, v7                                       // 00000000BD18: 7E0E4107
	v_add_f32_e64 v4, v4, 1.0                                  // 00000000BD1C: D1010004 0001E504
	v_add_f32_e64 v5, v5, 1.0                                  // 00000000BD24: D1010005 0001E505
	v_add_f32_e64 v6, v6, 1.0                                  // 00000000BD2C: D1010006 0001E506
	v_add_f32_e64 v7, v7, 1.0                                  // 00000000BD34: D1010007 0001E507
	v_rcp_f32_e32 v4, v4                                       // 00000000BD3C: 7E084504
	v_rcp_f32_e32 v5, v5                                       // 00000000BD40: 7E0A4505
	v_rcp_f32_e32 v6, v6                                       // 00000000BD44: 7E0C4506
	v_rcp_f32_e32 v7, v7                                       // 00000000BD48: 7E0E4507
	v_mul_f32_e32 v88, v88, v4                                 // 00000000BD4C: 0AB00958
	v_mul_f32_e32 v89, v89, v5                                 // 00000000BD50: 0AB20B59
	v_mul_f32_e32 v90, v90, v6                                 // 00000000BD54: 0AB40D5A
	v_mul_f32_e32 v91, v91, v7                                 // 00000000BD58: 0AB60F5B
	v_mul_f32_e32 v88, v88, v160                               // 00000000BD5C: 0AB14158
	v_mul_f32_e32 v89, v89, v161                               // 00000000BD60: 0AB34359
	v_mul_f32_e32 v90, v90, v162                               // 00000000BD64: 0AB5455A
	v_mul_f32_e32 v91, v91, v163                               // 00000000BD68: 0AB7475B
	v_mul_f32_e64 v4, -v92, s6                                 // 00000000BD6C: D1050004 20000D5C
	v_mul_f32_e64 v5, -v93, s6                                 // 00000000BD74: D1050005 20000D5D
	v_mul_f32_e64 v6, -v94, s6                                 // 00000000BD7C: D1050006 20000D5E
	v_mul_f32_e64 v7, -v95, s6                                 // 00000000BD84: D1050007 20000D5F
	v_exp_f32_e32 v4, v4                                       // 00000000BD8C: 7E084104
	v_exp_f32_e32 v5, v5                                       // 00000000BD90: 7E0A4105
	v_exp_f32_e32 v6, v6                                       // 00000000BD94: 7E0C4106
	v_exp_f32_e32 v7, v7                                       // 00000000BD98: 7E0E4107
	v_add_f32_e64 v4, v4, 1.0                                  // 00000000BD9C: D1010004 0001E504
	v_add_f32_e64 v5, v5, 1.0                                  // 00000000BDA4: D1010005 0001E505
	v_add_f32_e64 v6, v6, 1.0                                  // 00000000BDAC: D1010006 0001E506
	v_add_f32_e64 v7, v7, 1.0                                  // 00000000BDB4: D1010007 0001E507
	v_rcp_f32_e32 v4, v4                                       // 00000000BDBC: 7E084504
	v_rcp_f32_e32 v5, v5                                       // 00000000BDC0: 7E0A4505
	v_rcp_f32_e32 v6, v6                                       // 00000000BDC4: 7E0C4506
	v_rcp_f32_e32 v7, v7                                       // 00000000BDC8: 7E0E4507
	v_mul_f32_e32 v92, v92, v4                                 // 00000000BDCC: 0AB8095C
	v_mul_f32_e32 v93, v93, v5                                 // 00000000BDD0: 0ABA0B5D
	v_mul_f32_e32 v94, v94, v6                                 // 00000000BDD4: 0ABC0D5E
	v_mul_f32_e32 v95, v95, v7                                 // 00000000BDD8: 0ABE0F5F
	v_mul_f32_e32 v92, v92, v164                               // 00000000BDDC: 0AB9495C
	v_mul_f32_e32 v93, v93, v165                               // 00000000BDE0: 0ABB4B5D
	v_mul_f32_e32 v94, v94, v166                               // 00000000BDE4: 0ABD4D5E
	v_mul_f32_e32 v95, v95, v167                               // 00000000BDE8: 0ABF4F5F
	v_mul_f32_e64 v4, -v96, s6                                 // 00000000BDEC: D1050004 20000D60
	v_mul_f32_e64 v5, -v97, s6                                 // 00000000BDF4: D1050005 20000D61
	v_mul_f32_e64 v6, -v98, s6                                 // 00000000BDFC: D1050006 20000D62
	v_mul_f32_e64 v7, -v99, s6                                 // 00000000BE04: D1050007 20000D63
	v_exp_f32_e32 v4, v4                                       // 00000000BE0C: 7E084104
	v_exp_f32_e32 v5, v5                                       // 00000000BE10: 7E0A4105
	v_exp_f32_e32 v6, v6                                       // 00000000BE14: 7E0C4106
	v_exp_f32_e32 v7, v7                                       // 00000000BE18: 7E0E4107
	v_add_f32_e64 v4, v4, 1.0                                  // 00000000BE1C: D1010004 0001E504
	v_add_f32_e64 v5, v5, 1.0                                  // 00000000BE24: D1010005 0001E505
	v_add_f32_e64 v6, v6, 1.0                                  // 00000000BE2C: D1010006 0001E506
	v_add_f32_e64 v7, v7, 1.0                                  // 00000000BE34: D1010007 0001E507
	v_rcp_f32_e32 v4, v4                                       // 00000000BE3C: 7E084504
	v_rcp_f32_e32 v5, v5                                       // 00000000BE40: 7E0A4505
	v_rcp_f32_e32 v6, v6                                       // 00000000BE44: 7E0C4506
	v_rcp_f32_e32 v7, v7                                       // 00000000BE48: 7E0E4507
	v_mul_f32_e32 v96, v96, v4                                 // 00000000BE4C: 0AC00960
	v_mul_f32_e32 v97, v97, v5                                 // 00000000BE50: 0AC20B61
	v_mul_f32_e32 v98, v98, v6                                 // 00000000BE54: 0AC40D62
	v_mul_f32_e32 v99, v99, v7                                 // 00000000BE58: 0AC60F63
	v_mul_f32_e32 v96, v96, v168                               // 00000000BE5C: 0AC15160
	v_mul_f32_e32 v97, v97, v169                               // 00000000BE60: 0AC35361
	v_mul_f32_e32 v98, v98, v170                               // 00000000BE64: 0AC55562
	v_mul_f32_e32 v99, v99, v171                               // 00000000BE68: 0AC75763
	v_mul_f32_e64 v4, -v100, s6                                // 00000000BE6C: D1050004 20000D64
	v_mul_f32_e64 v5, -v101, s6                                // 00000000BE74: D1050005 20000D65
	v_mul_f32_e64 v6, -v102, s6                                // 00000000BE7C: D1050006 20000D66
	v_mul_f32_e64 v7, -v103, s6                                // 00000000BE84: D1050007 20000D67
	v_exp_f32_e32 v4, v4                                       // 00000000BE8C: 7E084104
	v_exp_f32_e32 v5, v5                                       // 00000000BE90: 7E0A4105
	v_exp_f32_e32 v6, v6                                       // 00000000BE94: 7E0C4106
	v_exp_f32_e32 v7, v7                                       // 00000000BE98: 7E0E4107
	v_add_f32_e64 v4, v4, 1.0                                  // 00000000BE9C: D1010004 0001E504
	v_add_f32_e64 v5, v5, 1.0                                  // 00000000BEA4: D1010005 0001E505
	v_add_f32_e64 v6, v6, 1.0                                  // 00000000BEAC: D1010006 0001E506
	v_add_f32_e64 v7, v7, 1.0                                  // 00000000BEB4: D1010007 0001E507
	v_rcp_f32_e32 v4, v4                                       // 00000000BEBC: 7E084504
	v_rcp_f32_e32 v5, v5                                       // 00000000BEC0: 7E0A4505
	v_rcp_f32_e32 v6, v6                                       // 00000000BEC4: 7E0C4506
	v_rcp_f32_e32 v7, v7                                       // 00000000BEC8: 7E0E4507
	v_mul_f32_e32 v100, v100, v4                               // 00000000BECC: 0AC80964
	v_mul_f32_e32 v101, v101, v5                               // 00000000BED0: 0ACA0B65
	v_mul_f32_e32 v102, v102, v6                               // 00000000BED4: 0ACC0D66
	v_mul_f32_e32 v103, v103, v7                               // 00000000BED8: 0ACE0F67
	v_mul_f32_e32 v100, v100, v172                             // 00000000BEDC: 0AC95964
	v_mul_f32_e32 v101, v101, v173                             // 00000000BEE0: 0ACB5B65
	v_mul_f32_e32 v102, v102, v174                             // 00000000BEE4: 0ACD5D66
	v_mul_f32_e32 v103, v103, v175                             // 00000000BEE8: 0ACF5F67
	v_mul_f32_e64 v4, -v104, s6                                // 00000000BEEC: D1050004 20000D68
	v_mul_f32_e64 v5, -v105, s6                                // 00000000BEF4: D1050005 20000D69
	v_mul_f32_e64 v6, -v106, s6                                // 00000000BEFC: D1050006 20000D6A
	v_mul_f32_e64 v7, -v107, s6                                // 00000000BF04: D1050007 20000D6B
	v_exp_f32_e32 v4, v4                                       // 00000000BF0C: 7E084104
	v_exp_f32_e32 v5, v5                                       // 00000000BF10: 7E0A4105
	v_exp_f32_e32 v6, v6                                       // 00000000BF14: 7E0C4106
	v_exp_f32_e32 v7, v7                                       // 00000000BF18: 7E0E4107
	v_add_f32_e64 v4, v4, 1.0                                  // 00000000BF1C: D1010004 0001E504
	v_add_f32_e64 v5, v5, 1.0                                  // 00000000BF24: D1010005 0001E505
	v_add_f32_e64 v6, v6, 1.0                                  // 00000000BF2C: D1010006 0001E506
	v_add_f32_e64 v7, v7, 1.0                                  // 00000000BF34: D1010007 0001E507
	v_rcp_f32_e32 v4, v4                                       // 00000000BF3C: 7E084504
	v_rcp_f32_e32 v5, v5                                       // 00000000BF40: 7E0A4505
	v_rcp_f32_e32 v6, v6                                       // 00000000BF44: 7E0C4506
	v_rcp_f32_e32 v7, v7                                       // 00000000BF48: 7E0E4507
	v_mul_f32_e32 v104, v104, v4                               // 00000000BF4C: 0AD00968
	v_mul_f32_e32 v105, v105, v5                               // 00000000BF50: 0AD20B69
	v_mul_f32_e32 v106, v106, v6                               // 00000000BF54: 0AD40D6A
	v_mul_f32_e32 v107, v107, v7                               // 00000000BF58: 0AD60F6B
	v_mul_f32_e32 v104, v104, v176                             // 00000000BF5C: 0AD16168
	v_mul_f32_e32 v105, v105, v177                             // 00000000BF60: 0AD36369
	v_mul_f32_e32 v106, v106, v178                             // 00000000BF64: 0AD5656A
	v_mul_f32_e32 v107, v107, v179                             // 00000000BF68: 0AD7676B
	v_mul_f32_e64 v4, -v108, s6                                // 00000000BF6C: D1050004 20000D6C
	v_mul_f32_e64 v5, -v109, s6                                // 00000000BF74: D1050005 20000D6D
	v_mul_f32_e64 v6, -v110, s6                                // 00000000BF7C: D1050006 20000D6E
	v_mul_f32_e64 v7, -v111, s6                                // 00000000BF84: D1050007 20000D6F
	v_exp_f32_e32 v4, v4                                       // 00000000BF8C: 7E084104
	v_exp_f32_e32 v5, v5                                       // 00000000BF90: 7E0A4105
	v_exp_f32_e32 v6, v6                                       // 00000000BF94: 7E0C4106
	v_exp_f32_e32 v7, v7                                       // 00000000BF98: 7E0E4107
	v_add_f32_e64 v4, v4, 1.0                                  // 00000000BF9C: D1010004 0001E504
	v_add_f32_e64 v5, v5, 1.0                                  // 00000000BFA4: D1010005 0001E505
	v_add_f32_e64 v6, v6, 1.0                                  // 00000000BFAC: D1010006 0001E506
	v_add_f32_e64 v7, v7, 1.0                                  // 00000000BFB4: D1010007 0001E507
	v_rcp_f32_e32 v4, v4                                       // 00000000BFBC: 7E084504
	v_rcp_f32_e32 v5, v5                                       // 00000000BFC0: 7E0A4505
	v_rcp_f32_e32 v6, v6                                       // 00000000BFC4: 7E0C4506
	v_rcp_f32_e32 v7, v7                                       // 00000000BFC8: 7E0E4507
	v_mul_f32_e32 v108, v108, v4                               // 00000000BFCC: 0AD8096C
	v_mul_f32_e32 v109, v109, v5                               // 00000000BFD0: 0ADA0B6D
	v_mul_f32_e32 v110, v110, v6                               // 00000000BFD4: 0ADC0D6E
	v_mul_f32_e32 v111, v111, v7                               // 00000000BFD8: 0ADE0F6F
	v_mul_f32_e32 v108, v108, v180                             // 00000000BFDC: 0AD9696C
	v_mul_f32_e32 v109, v109, v181                             // 00000000BFE0: 0ADB6B6D
	v_mul_f32_e32 v110, v110, v182                             // 00000000BFE4: 0ADD6D6E
	v_mul_f32_e32 v111, v111, v183                             // 00000000BFE8: 0ADF6F6F
	v_mul_f32_e64 v4, -v112, s6                                // 00000000BFEC: D1050004 20000D70
	v_mul_f32_e64 v5, -v113, s6                                // 00000000BFF4: D1050005 20000D71
	v_mul_f32_e64 v6, -v114, s6                                // 00000000BFFC: D1050006 20000D72
	v_mul_f32_e64 v7, -v115, s6                                // 00000000C004: D1050007 20000D73
	v_exp_f32_e32 v4, v4                                       // 00000000C00C: 7E084104
	v_exp_f32_e32 v5, v5                                       // 00000000C010: 7E0A4105
	v_exp_f32_e32 v6, v6                                       // 00000000C014: 7E0C4106
	v_exp_f32_e32 v7, v7                                       // 00000000C018: 7E0E4107
	v_add_f32_e64 v4, v4, 1.0                                  // 00000000C01C: D1010004 0001E504
	v_add_f32_e64 v5, v5, 1.0                                  // 00000000C024: D1010005 0001E505
	v_add_f32_e64 v6, v6, 1.0                                  // 00000000C02C: D1010006 0001E506
	v_add_f32_e64 v7, v7, 1.0                                  // 00000000C034: D1010007 0001E507
	v_rcp_f32_e32 v4, v4                                       // 00000000C03C: 7E084504
	v_rcp_f32_e32 v5, v5                                       // 00000000C040: 7E0A4505
	v_rcp_f32_e32 v6, v6                                       // 00000000C044: 7E0C4506
	v_rcp_f32_e32 v7, v7                                       // 00000000C048: 7E0E4507
	v_mul_f32_e32 v112, v112, v4                               // 00000000C04C: 0AE00970
	v_mul_f32_e32 v113, v113, v5                               // 00000000C050: 0AE20B71
	v_mul_f32_e32 v114, v114, v6                               // 00000000C054: 0AE40D72
	v_mul_f32_e32 v115, v115, v7                               // 00000000C058: 0AE60F73
	v_mul_f32_e32 v112, v112, v184                             // 00000000C05C: 0AE17170
	v_mul_f32_e32 v113, v113, v185                             // 00000000C060: 0AE37371
	v_mul_f32_e32 v114, v114, v186                             // 00000000C064: 0AE57572
	v_mul_f32_e32 v115, v115, v187                             // 00000000C068: 0AE77773
	v_mul_f32_e64 v4, -v116, s6                                // 00000000C06C: D1050004 20000D74
	v_mul_f32_e64 v5, -v117, s6                                // 00000000C074: D1050005 20000D75
	v_mul_f32_e64 v6, -v118, s6                                // 00000000C07C: D1050006 20000D76
	v_mul_f32_e64 v7, -v119, s6                                // 00000000C084: D1050007 20000D77
	v_exp_f32_e32 v4, v4                                       // 00000000C08C: 7E084104
	v_exp_f32_e32 v5, v5                                       // 00000000C090: 7E0A4105
	v_exp_f32_e32 v6, v6                                       // 00000000C094: 7E0C4106
	v_exp_f32_e32 v7, v7                                       // 00000000C098: 7E0E4107
	v_add_f32_e64 v4, v4, 1.0                                  // 00000000C09C: D1010004 0001E504
	v_add_f32_e64 v5, v5, 1.0                                  // 00000000C0A4: D1010005 0001E505
	v_add_f32_e64 v6, v6, 1.0                                  // 00000000C0AC: D1010006 0001E506
	v_add_f32_e64 v7, v7, 1.0                                  // 00000000C0B4: D1010007 0001E507
	v_rcp_f32_e32 v4, v4                                       // 00000000C0BC: 7E084504
	v_rcp_f32_e32 v5, v5                                       // 00000000C0C0: 7E0A4505
	v_rcp_f32_e32 v6, v6                                       // 00000000C0C4: 7E0C4506
	v_rcp_f32_e32 v7, v7                                       // 00000000C0C8: 7E0E4507
	v_mul_f32_e32 v116, v116, v4                               // 00000000C0CC: 0AE80974
	v_mul_f32_e32 v117, v117, v5                               // 00000000C0D0: 0AEA0B75
	v_mul_f32_e32 v118, v118, v6                               // 00000000C0D4: 0AEC0D76
	v_mul_f32_e32 v119, v119, v7                               // 00000000C0D8: 0AEE0F77
	v_mul_f32_e32 v116, v116, v188                             // 00000000C0DC: 0AE97974
	v_mul_f32_e32 v117, v117, v189                             // 00000000C0E0: 0AEB7B75
	v_mul_f32_e32 v118, v118, v190                             // 00000000C0E4: 0AED7D76
	v_mul_f32_e32 v119, v119, v191                             // 00000000C0E8: 0AEF7F77
	v_mul_f32_e64 v4, -v120, s6                                // 00000000C0EC: D1050004 20000D78
	v_mul_f32_e64 v5, -v121, s6                                // 00000000C0F4: D1050005 20000D79
	v_mul_f32_e64 v6, -v122, s6                                // 00000000C0FC: D1050006 20000D7A
	v_mul_f32_e64 v7, -v123, s6                                // 00000000C104: D1050007 20000D7B
	v_exp_f32_e32 v4, v4                                       // 00000000C10C: 7E084104
	v_exp_f32_e32 v5, v5                                       // 00000000C110: 7E0A4105
	v_exp_f32_e32 v6, v6                                       // 00000000C114: 7E0C4106
	v_exp_f32_e32 v7, v7                                       // 00000000C118: 7E0E4107
	v_add_f32_e64 v4, v4, 1.0                                  // 00000000C11C: D1010004 0001E504
	v_add_f32_e64 v5, v5, 1.0                                  // 00000000C124: D1010005 0001E505
	v_add_f32_e64 v6, v6, 1.0                                  // 00000000C12C: D1010006 0001E506
	v_add_f32_e64 v7, v7, 1.0                                  // 00000000C134: D1010007 0001E507
	v_rcp_f32_e32 v4, v4                                       // 00000000C13C: 7E084504
	v_rcp_f32_e32 v5, v5                                       // 00000000C140: 7E0A4505
	v_rcp_f32_e32 v6, v6                                       // 00000000C144: 7E0C4506
	v_rcp_f32_e32 v7, v7                                       // 00000000C148: 7E0E4507
	v_mul_f32_e32 v120, v120, v4                               // 00000000C14C: 0AF00978
	v_mul_f32_e32 v121, v121, v5                               // 00000000C150: 0AF20B79
	v_mul_f32_e32 v122, v122, v6                               // 00000000C154: 0AF40D7A
	v_mul_f32_e32 v123, v123, v7                               // 00000000C158: 0AF60F7B
	v_mul_f32_e32 v120, v120, v192                             // 00000000C15C: 0AF18178
	v_mul_f32_e32 v121, v121, v193                             // 00000000C160: 0AF38379
	v_mul_f32_e32 v122, v122, v194                             // 00000000C164: 0AF5857A
	v_mul_f32_e32 v123, v123, v195                             // 00000000C168: 0AF7877B
	v_mul_f32_e64 v4, -v124, s6                                // 00000000C16C: D1050004 20000D7C
	v_mul_f32_e64 v5, -v125, s6                                // 00000000C174: D1050005 20000D7D
	v_mul_f32_e64 v6, -v126, s6                                // 00000000C17C: D1050006 20000D7E
	v_mul_f32_e64 v7, -v127, s6                                // 00000000C184: D1050007 20000D7F
	v_exp_f32_e32 v4, v4                                       // 00000000C18C: 7E084104
	v_exp_f32_e32 v5, v5                                       // 00000000C190: 7E0A4105
	v_exp_f32_e32 v6, v6                                       // 00000000C194: 7E0C4106
	v_exp_f32_e32 v7, v7                                       // 00000000C198: 7E0E4107
	v_add_f32_e64 v4, v4, 1.0                                  // 00000000C19C: D1010004 0001E504
	v_add_f32_e64 v5, v5, 1.0                                  // 00000000C1A4: D1010005 0001E505
	v_add_f32_e64 v6, v6, 1.0                                  // 00000000C1AC: D1010006 0001E506
	v_add_f32_e64 v7, v7, 1.0                                  // 00000000C1B4: D1010007 0001E507
	v_rcp_f32_e32 v4, v4                                       // 00000000C1BC: 7E084504
	v_rcp_f32_e32 v5, v5                                       // 00000000C1C0: 7E0A4505
	v_rcp_f32_e32 v6, v6                                       // 00000000C1C4: 7E0C4506
	v_rcp_f32_e32 v7, v7                                       // 00000000C1C8: 7E0E4507
	v_mul_f32_e32 v124, v124, v4                               // 00000000C1CC: 0AF8097C
	v_mul_f32_e32 v125, v125, v5                               // 00000000C1D0: 0AFA0B7D
	v_mul_f32_e32 v126, v126, v6                               // 00000000C1D4: 0AFC0D7E
	v_mul_f32_e32 v127, v127, v7                               // 00000000C1D8: 0AFE0F7F
	v_mul_f32_e32 v124, v124, v196                             // 00000000C1DC: 0AF9897C
	v_mul_f32_e32 v125, v125, v197                             // 00000000C1E0: 0AFB8B7D
	v_mul_f32_e32 v126, v126, v198                             // 00000000C1E4: 0AFD8D7E
	v_mul_f32_e32 v127, v127, v199                             // 00000000C1E8: 0AFF8F7F
	v_mul_f32_e64 v4, -v128, s6                                // 00000000C1EC: D1050004 20000D80
	v_mul_f32_e64 v5, -v129, s6                                // 00000000C1F4: D1050005 20000D81
	v_mul_f32_e64 v6, -v130, s6                                // 00000000C1FC: D1050006 20000D82
	v_mul_f32_e64 v7, -v131, s6                                // 00000000C204: D1050007 20000D83
	v_exp_f32_e32 v4, v4                                       // 00000000C20C: 7E084104
	v_exp_f32_e32 v5, v5                                       // 00000000C210: 7E0A4105
	v_exp_f32_e32 v6, v6                                       // 00000000C214: 7E0C4106
	v_exp_f32_e32 v7, v7                                       // 00000000C218: 7E0E4107
	v_add_f32_e64 v4, v4, 1.0                                  // 00000000C21C: D1010004 0001E504
	v_add_f32_e64 v5, v5, 1.0                                  // 00000000C224: D1010005 0001E505
	v_add_f32_e64 v6, v6, 1.0                                  // 00000000C22C: D1010006 0001E506
	v_add_f32_e64 v7, v7, 1.0                                  // 00000000C234: D1010007 0001E507
	v_rcp_f32_e32 v4, v4                                       // 00000000C23C: 7E084504
	v_rcp_f32_e32 v5, v5                                       // 00000000C240: 7E0A4505
	v_rcp_f32_e32 v6, v6                                       // 00000000C244: 7E0C4506
	v_rcp_f32_e32 v7, v7                                       // 00000000C248: 7E0E4507
	v_mul_f32_e32 v128, v128, v4                               // 00000000C24C: 0B000980
	v_mul_f32_e32 v129, v129, v5                               // 00000000C250: 0B020B81
	v_mul_f32_e32 v130, v130, v6                               // 00000000C254: 0B040D82
	v_mul_f32_e32 v131, v131, v7                               // 00000000C258: 0B060F83
	v_mul_f32_e32 v128, v128, v200                             // 00000000C25C: 0B019180
	v_mul_f32_e32 v129, v129, v201                             // 00000000C260: 0B039381
	v_mul_f32_e32 v130, v130, v202                             // 00000000C264: 0B059582
	v_mul_f32_e32 v131, v131, v203                             // 00000000C268: 0B079783
	v_mul_f32_e64 v4, -v132, s6                                // 00000000C26C: D1050004 20000D84
	v_mul_f32_e64 v5, -v133, s6                                // 00000000C274: D1050005 20000D85
	v_mul_f32_e64 v6, -v134, s6                                // 00000000C27C: D1050006 20000D86
	v_mul_f32_e64 v7, -v135, s6                                // 00000000C284: D1050007 20000D87
	v_exp_f32_e32 v4, v4                                       // 00000000C28C: 7E084104
	v_exp_f32_e32 v5, v5                                       // 00000000C290: 7E0A4105
	v_exp_f32_e32 v6, v6                                       // 00000000C294: 7E0C4106
	v_exp_f32_e32 v7, v7                                       // 00000000C298: 7E0E4107
	v_add_f32_e64 v4, v4, 1.0                                  // 00000000C29C: D1010004 0001E504
	v_add_f32_e64 v5, v5, 1.0                                  // 00000000C2A4: D1010005 0001E505
	v_add_f32_e64 v6, v6, 1.0                                  // 00000000C2AC: D1010006 0001E506
	v_add_f32_e64 v7, v7, 1.0                                  // 00000000C2B4: D1010007 0001E507
	v_rcp_f32_e32 v4, v4                                       // 00000000C2BC: 7E084504
	v_rcp_f32_e32 v5, v5                                       // 00000000C2C0: 7E0A4505
	v_rcp_f32_e32 v6, v6                                       // 00000000C2C4: 7E0C4506
	v_rcp_f32_e32 v7, v7                                       // 00000000C2C8: 7E0E4507
	v_mul_f32_e32 v132, v132, v4                               // 00000000C2CC: 0B080984
	v_mul_f32_e32 v133, v133, v5                               // 00000000C2D0: 0B0A0B85
	v_mul_f32_e32 v134, v134, v6                               // 00000000C2D4: 0B0C0D86
	v_mul_f32_e32 v135, v135, v7                               // 00000000C2D8: 0B0E0F87
	v_mul_f32_e32 v132, v132, v204                             // 00000000C2DC: 0B099984
	v_mul_f32_e32 v133, v133, v205                             // 00000000C2E0: 0B0B9B85
	v_mul_f32_e32 v134, v134, v206                             // 00000000C2E4: 0B0D9D86
	v_mul_f32_e32 v135, v135, v207                             // 00000000C2E8: 0B0F9F87
	v_mul_f32_e64 v4, -v136, s6                                // 00000000C2EC: D1050004 20000D88
	v_mul_f32_e64 v5, -v137, s6                                // 00000000C2F4: D1050005 20000D89
	v_mul_f32_e64 v6, -v138, s6                                // 00000000C2FC: D1050006 20000D8A
	v_mul_f32_e64 v7, -v139, s6                                // 00000000C304: D1050007 20000D8B
	v_exp_f32_e32 v4, v4                                       // 00000000C30C: 7E084104
	v_exp_f32_e32 v5, v5                                       // 00000000C310: 7E0A4105
	v_exp_f32_e32 v6, v6                                       // 00000000C314: 7E0C4106
	v_exp_f32_e32 v7, v7                                       // 00000000C318: 7E0E4107
	v_add_f32_e64 v4, v4, 1.0                                  // 00000000C31C: D1010004 0001E504
	v_add_f32_e64 v5, v5, 1.0                                  // 00000000C324: D1010005 0001E505
	v_add_f32_e64 v6, v6, 1.0                                  // 00000000C32C: D1010006 0001E506
	v_add_f32_e64 v7, v7, 1.0                                  // 00000000C334: D1010007 0001E507
	v_rcp_f32_e32 v4, v4                                       // 00000000C33C: 7E084504
	v_rcp_f32_e32 v5, v5                                       // 00000000C340: 7E0A4505
	v_rcp_f32_e32 v6, v6                                       // 00000000C344: 7E0C4506
	v_rcp_f32_e32 v7, v7                                       // 00000000C348: 7E0E4507
	v_mul_f32_e32 v136, v136, v4                               // 00000000C34C: 0B100988
	v_mul_f32_e32 v137, v137, v5                               // 00000000C350: 0B120B89
	v_mul_f32_e32 v138, v138, v6                               // 00000000C354: 0B140D8A
	v_mul_f32_e32 v139, v139, v7                               // 00000000C358: 0B160F8B
	v_mul_f32_e32 v136, v136, v208                             // 00000000C35C: 0B11A188
	v_mul_f32_e32 v137, v137, v209                             // 00000000C360: 0B13A389
	v_mul_f32_e32 v138, v138, v210                             // 00000000C364: 0B15A58A
	v_mul_f32_e32 v139, v139, v211                             // 00000000C368: 0B17A78B
	v_mul_f32_e64 v4, -v140, s6                                // 00000000C36C: D1050004 20000D8C
	v_mul_f32_e64 v5, -v141, s6                                // 00000000C374: D1050005 20000D8D
	v_mul_f32_e64 v6, -v142, s6                                // 00000000C37C: D1050006 20000D8E
	v_mul_f32_e64 v7, -v143, s6                                // 00000000C384: D1050007 20000D8F
	v_exp_f32_e32 v4, v4                                       // 00000000C38C: 7E084104
	v_exp_f32_e32 v5, v5                                       // 00000000C390: 7E0A4105
	v_exp_f32_e32 v6, v6                                       // 00000000C394: 7E0C4106
	v_exp_f32_e32 v7, v7                                       // 00000000C398: 7E0E4107
	v_add_f32_e64 v4, v4, 1.0                                  // 00000000C39C: D1010004 0001E504
	v_add_f32_e64 v5, v5, 1.0                                  // 00000000C3A4: D1010005 0001E505
	v_add_f32_e64 v6, v6, 1.0                                  // 00000000C3AC: D1010006 0001E506
	v_add_f32_e64 v7, v7, 1.0                                  // 00000000C3B4: D1010007 0001E507
	v_rcp_f32_e32 v4, v4                                       // 00000000C3BC: 7E084504
	v_rcp_f32_e32 v5, v5                                       // 00000000C3C0: 7E0A4505
	v_rcp_f32_e32 v6, v6                                       // 00000000C3C4: 7E0C4506
	v_rcp_f32_e32 v7, v7                                       // 00000000C3C8: 7E0E4507
	v_mul_f32_e32 v140, v140, v4                               // 00000000C3CC: 0B18098C
	v_mul_f32_e32 v141, v141, v5                               // 00000000C3D0: 0B1A0B8D
	v_mul_f32_e32 v142, v142, v6                               // 00000000C3D4: 0B1C0D8E
	v_mul_f32_e32 v143, v143, v7                               // 00000000C3D8: 0B1E0F8F
	v_mul_f32_e32 v140, v140, v212                             // 00000000C3DC: 0B19A98C
	v_mul_f32_e32 v141, v141, v213                             // 00000000C3E0: 0B1BAB8D
	v_mul_f32_e32 v142, v142, v214                             // 00000000C3E4: 0B1DAD8E
	v_mul_f32_e32 v143, v143, v215                             // 00000000C3E8: 0B1FAF8F
	v_mul_f32_e64 v4, -v144, s6                                // 00000000C3EC: D1050004 20000D90
	v_mul_f32_e64 v5, -v145, s6                                // 00000000C3F4: D1050005 20000D91
	v_mul_f32_e64 v6, -v146, s6                                // 00000000C3FC: D1050006 20000D92
	v_mul_f32_e64 v7, -v147, s6                                // 00000000C404: D1050007 20000D93
	v_exp_f32_e32 v4, v4                                       // 00000000C40C: 7E084104
	v_exp_f32_e32 v5, v5                                       // 00000000C410: 7E0A4105
	v_exp_f32_e32 v6, v6                                       // 00000000C414: 7E0C4106
	v_exp_f32_e32 v7, v7                                       // 00000000C418: 7E0E4107
	v_add_f32_e64 v4, v4, 1.0                                  // 00000000C41C: D1010004 0001E504
	v_add_f32_e64 v5, v5, 1.0                                  // 00000000C424: D1010005 0001E505
	v_add_f32_e64 v6, v6, 1.0                                  // 00000000C42C: D1010006 0001E506
	v_add_f32_e64 v7, v7, 1.0                                  // 00000000C434: D1010007 0001E507
	v_rcp_f32_e32 v4, v4                                       // 00000000C43C: 7E084504
	v_rcp_f32_e32 v5, v5                                       // 00000000C440: 7E0A4505
	v_rcp_f32_e32 v6, v6                                       // 00000000C444: 7E0C4506
	v_rcp_f32_e32 v7, v7                                       // 00000000C448: 7E0E4507
	v_mul_f32_e32 v144, v144, v4                               // 00000000C44C: 0B200990
	v_mul_f32_e32 v145, v145, v5                               // 00000000C450: 0B220B91
	v_mul_f32_e32 v146, v146, v6                               // 00000000C454: 0B240D92
	v_mul_f32_e32 v147, v147, v7                               // 00000000C458: 0B260F93
	v_mul_f32_e32 v144, v144, v216                             // 00000000C45C: 0B21B190
	v_mul_f32_e32 v145, v145, v217                             // 00000000C460: 0B23B391
	v_mul_f32_e32 v146, v146, v218                             // 00000000C464: 0B25B592
	v_mul_f32_e32 v147, v147, v219                             // 00000000C468: 0B27B793
	v_mul_f32_e64 v4, -v148, s6                                // 00000000C46C: D1050004 20000D94
	v_mul_f32_e64 v5, -v149, s6                                // 00000000C474: D1050005 20000D95
	v_mul_f32_e64 v6, -v150, s6                                // 00000000C47C: D1050006 20000D96
	v_mul_f32_e64 v7, -v151, s6                                // 00000000C484: D1050007 20000D97
	v_exp_f32_e32 v4, v4                                       // 00000000C48C: 7E084104
	v_exp_f32_e32 v5, v5                                       // 00000000C490: 7E0A4105
	v_exp_f32_e32 v6, v6                                       // 00000000C494: 7E0C4106
	v_exp_f32_e32 v7, v7                                       // 00000000C498: 7E0E4107
	v_add_f32_e64 v4, v4, 1.0                                  // 00000000C49C: D1010004 0001E504
	v_add_f32_e64 v5, v5, 1.0                                  // 00000000C4A4: D1010005 0001E505
	v_add_f32_e64 v6, v6, 1.0                                  // 00000000C4AC: D1010006 0001E506
	v_add_f32_e64 v7, v7, 1.0                                  // 00000000C4B4: D1010007 0001E507
	v_rcp_f32_e32 v4, v4                                       // 00000000C4BC: 7E084504
	v_rcp_f32_e32 v5, v5                                       // 00000000C4C0: 7E0A4505
	v_rcp_f32_e32 v6, v6                                       // 00000000C4C4: 7E0C4506
	v_rcp_f32_e32 v7, v7                                       // 00000000C4C8: 7E0E4507
	v_mul_f32_e32 v148, v148, v4                               // 00000000C4CC: 0B280994
	v_mul_f32_e32 v149, v149, v5                               // 00000000C4D0: 0B2A0B95
	v_mul_f32_e32 v150, v150, v6                               // 00000000C4D4: 0B2C0D96
	v_mul_f32_e32 v151, v151, v7                               // 00000000C4D8: 0B2E0F97
	v_mul_f32_e32 v148, v148, v220                             // 00000000C4DC: 0B29B994
	v_mul_f32_e32 v149, v149, v221                             // 00000000C4E0: 0B2BBB95
	v_mul_f32_e32 v150, v150, v222                             // 00000000C4E4: 0B2DBD96
	v_mul_f32_e32 v151, v151, v223                             // 00000000C4E8: 0B2FBF97
	v_mul_f32_e64 v4, -v152, s6                                // 00000000C4EC: D1050004 20000D98
	v_mul_f32_e64 v5, -v153, s6                                // 00000000C4F4: D1050005 20000D99
	v_mul_f32_e64 v6, -v154, s6                                // 00000000C4FC: D1050006 20000D9A
	v_mul_f32_e64 v7, -v155, s6                                // 00000000C504: D1050007 20000D9B
	v_exp_f32_e32 v4, v4                                       // 00000000C50C: 7E084104
	v_exp_f32_e32 v5, v5                                       // 00000000C510: 7E0A4105
	v_exp_f32_e32 v6, v6                                       // 00000000C514: 7E0C4106
	v_exp_f32_e32 v7, v7                                       // 00000000C518: 7E0E4107
	v_add_f32_e64 v4, v4, 1.0                                  // 00000000C51C: D1010004 0001E504
	v_add_f32_e64 v5, v5, 1.0                                  // 00000000C524: D1010005 0001E505
	v_add_f32_e64 v6, v6, 1.0                                  // 00000000C52C: D1010006 0001E506
	v_add_f32_e64 v7, v7, 1.0                                  // 00000000C534: D1010007 0001E507
	v_rcp_f32_e32 v4, v4                                       // 00000000C53C: 7E084504
	v_rcp_f32_e32 v5, v5                                       // 00000000C540: 7E0A4505
	v_rcp_f32_e32 v6, v6                                       // 00000000C544: 7E0C4506
	v_rcp_f32_e32 v7, v7                                       // 00000000C548: 7E0E4507
	v_mul_f32_e32 v152, v152, v4                               // 00000000C54C: 0B300998
	v_mul_f32_e32 v153, v153, v5                               // 00000000C550: 0B320B99
	v_mul_f32_e32 v154, v154, v6                               // 00000000C554: 0B340D9A
	v_mul_f32_e32 v155, v155, v7                               // 00000000C558: 0B360F9B
	v_mul_f32_e32 v152, v152, v224                             // 00000000C55C: 0B31C198
	v_mul_f32_e32 v153, v153, v225                             // 00000000C560: 0B33C399
	v_mul_f32_e32 v154, v154, v226                             // 00000000C564: 0B35C59A
	v_mul_f32_e32 v155, v155, v227                             // 00000000C568: 0B37C79B

000000000000c56c <label_26DE>:
	v_cmp_u_f32_e64 s[46:47], v84, v84                         // 00000000C56C: D048002E 0002A954
	v_add3_u32 v16, v84, v19, 1                                // 00000000C574: D1FF0010 02062754
	v_cndmask_b32_e64 v4, v16, v18, s[46:47]                   // 00000000C57C: D1000004 00BA2510
	v_cmp_u_f32_e64 s[46:47], v85, v85                         // 00000000C584: D048002E 0002AB55
	v_add3_u32 v16, v85, v19, 1                                // 00000000C58C: D1FF0010 02062755
	v_cndmask_b32_e64 v5, v16, v18, s[46:47]                   // 00000000C594: D1000005 00BA2510
	v_perm_b32 v84, v5, v4, s52                                // 00000000C59C: D1ED0054 00D20905
	v_cmp_u_f32_e64 s[46:47], v86, v86                         // 00000000C5A4: D048002E 0002AD56
	v_add3_u32 v16, v86, v19, 1                                // 00000000C5AC: D1FF0010 02062756
	v_cndmask_b32_e64 v4, v16, v18, s[46:47]                   // 00000000C5B4: D1000004 00BA2510
	v_cmp_u_f32_e64 s[46:47], v87, v87                         // 00000000C5BC: D048002E 0002AF57
	v_add3_u32 v16, v87, v19, 1                                // 00000000C5C4: D1FF0010 02062757
	v_cndmask_b32_e64 v5, v16, v18, s[46:47]                   // 00000000C5CC: D1000005 00BA2510
	v_perm_b32 v85, v5, v4, s52                                // 00000000C5D4: D1ED0055 00D20905
	v_cmp_u_f32_e64 s[46:47], v88, v88                         // 00000000C5DC: D048002E 0002B158
	v_add3_u32 v16, v88, v19, 1                                // 00000000C5E4: D1FF0010 02062758
	v_cndmask_b32_e64 v4, v16, v18, s[46:47]                   // 00000000C5EC: D1000004 00BA2510
	v_cmp_u_f32_e64 s[46:47], v89, v89                         // 00000000C5F4: D048002E 0002B359
	v_add3_u32 v16, v89, v19, 1                                // 00000000C5FC: D1FF0010 02062759
	v_cndmask_b32_e64 v5, v16, v18, s[46:47]                   // 00000000C604: D1000005 00BA2510
	v_perm_b32 v86, v5, v4, s52                                // 00000000C60C: D1ED0056 00D20905
	v_cmp_u_f32_e64 s[46:47], v90, v90                         // 00000000C614: D048002E 0002B55A
	v_add3_u32 v16, v90, v19, 1                                // 00000000C61C: D1FF0010 0206275A
	v_cndmask_b32_e64 v4, v16, v18, s[46:47]                   // 00000000C624: D1000004 00BA2510
	v_cmp_u_f32_e64 s[46:47], v91, v91                         // 00000000C62C: D048002E 0002B75B
	v_add3_u32 v16, v91, v19, 1                                // 00000000C634: D1FF0010 0206275B
	v_cndmask_b32_e64 v5, v16, v18, s[46:47]                   // 00000000C63C: D1000005 00BA2510
	v_perm_b32 v87, v5, v4, s52                                // 00000000C644: D1ED0057 00D20905
	v_cmp_u_f32_e64 s[46:47], v92, v92                         // 00000000C64C: D048002E 0002B95C
	v_add3_u32 v16, v92, v19, 1                                // 00000000C654: D1FF0010 0206275C
	v_cndmask_b32_e64 v4, v16, v18, s[46:47]                   // 00000000C65C: D1000004 00BA2510
	v_cmp_u_f32_e64 s[46:47], v93, v93                         // 00000000C664: D048002E 0002BB5D
	v_add3_u32 v16, v93, v19, 1                                // 00000000C66C: D1FF0010 0206275D
	v_cndmask_b32_e64 v5, v16, v18, s[46:47]                   // 00000000C674: D1000005 00BA2510
	v_perm_b32 v88, v5, v4, s52                                // 00000000C67C: D1ED0058 00D20905
	v_cmp_u_f32_e64 s[46:47], v94, v94                         // 00000000C684: D048002E 0002BD5E
	v_add3_u32 v16, v94, v19, 1                                // 00000000C68C: D1FF0010 0206275E
	v_cndmask_b32_e64 v4, v16, v18, s[46:47]                   // 00000000C694: D1000004 00BA2510
	v_cmp_u_f32_e64 s[46:47], v95, v95                         // 00000000C69C: D048002E 0002BF5F
	v_add3_u32 v16, v95, v19, 1                                // 00000000C6A4: D1FF0010 0206275F
	v_cndmask_b32_e64 v5, v16, v18, s[46:47]                   // 00000000C6AC: D1000005 00BA2510
	v_perm_b32 v89, v5, v4, s52                                // 00000000C6B4: D1ED0059 00D20905
	v_cmp_u_f32_e64 s[46:47], v96, v96                         // 00000000C6BC: D048002E 0002C160
	v_add3_u32 v16, v96, v19, 1                                // 00000000C6C4: D1FF0010 02062760
	v_cndmask_b32_e64 v4, v16, v18, s[46:47]                   // 00000000C6CC: D1000004 00BA2510
	v_cmp_u_f32_e64 s[46:47], v97, v97                         // 00000000C6D4: D048002E 0002C361
	v_add3_u32 v16, v97, v19, 1                                // 00000000C6DC: D1FF0010 02062761
	v_cndmask_b32_e64 v5, v16, v18, s[46:47]                   // 00000000C6E4: D1000005 00BA2510
	v_perm_b32 v90, v5, v4, s52                                // 00000000C6EC: D1ED005A 00D20905
	v_cmp_u_f32_e64 s[46:47], v98, v98                         // 00000000C6F4: D048002E 0002C562
	v_add3_u32 v16, v98, v19, 1                                // 00000000C6FC: D1FF0010 02062762
	v_cndmask_b32_e64 v4, v16, v18, s[46:47]                   // 00000000C704: D1000004 00BA2510
	v_cmp_u_f32_e64 s[46:47], v99, v99                         // 00000000C70C: D048002E 0002C763
	v_add3_u32 v16, v99, v19, 1                                // 00000000C714: D1FF0010 02062763
	v_cndmask_b32_e64 v5, v16, v18, s[46:47]                   // 00000000C71C: D1000005 00BA2510
	v_perm_b32 v91, v5, v4, s52                                // 00000000C724: D1ED005B 00D20905
	v_cmp_u_f32_e64 s[46:47], v100, v100                       // 00000000C72C: D048002E 0002C964
	v_add3_u32 v16, v100, v19, 1                               // 00000000C734: D1FF0010 02062764
	v_cndmask_b32_e64 v4, v16, v18, s[46:47]                   // 00000000C73C: D1000004 00BA2510
	v_cmp_u_f32_e64 s[46:47], v101, v101                       // 00000000C744: D048002E 0002CB65
	v_add3_u32 v16, v101, v19, 1                               // 00000000C74C: D1FF0010 02062765
	v_cndmask_b32_e64 v5, v16, v18, s[46:47]                   // 00000000C754: D1000005 00BA2510
	v_perm_b32 v92, v5, v4, s52                                // 00000000C75C: D1ED005C 00D20905
	v_cmp_u_f32_e64 s[46:47], v102, v102                       // 00000000C764: D048002E 0002CD66
	v_add3_u32 v16, v102, v19, 1                               // 00000000C76C: D1FF0010 02062766
	v_cndmask_b32_e64 v4, v16, v18, s[46:47]                   // 00000000C774: D1000004 00BA2510
	v_cmp_u_f32_e64 s[46:47], v103, v103                       // 00000000C77C: D048002E 0002CF67
	v_add3_u32 v16, v103, v19, 1                               // 00000000C784: D1FF0010 02062767
	v_cndmask_b32_e64 v5, v16, v18, s[46:47]                   // 00000000C78C: D1000005 00BA2510
	v_perm_b32 v93, v5, v4, s52                                // 00000000C794: D1ED005D 00D20905
	v_cmp_u_f32_e64 s[46:47], v104, v104                       // 00000000C79C: D048002E 0002D168
	v_add3_u32 v16, v104, v19, 1                               // 00000000C7A4: D1FF0010 02062768
	v_cndmask_b32_e64 v4, v16, v18, s[46:47]                   // 00000000C7AC: D1000004 00BA2510
	v_cmp_u_f32_e64 s[46:47], v105, v105                       // 00000000C7B4: D048002E 0002D369
	v_add3_u32 v16, v105, v19, 1                               // 00000000C7BC: D1FF0010 02062769
	v_cndmask_b32_e64 v5, v16, v18, s[46:47]                   // 00000000C7C4: D1000005 00BA2510
	v_perm_b32 v94, v5, v4, s52                                // 00000000C7CC: D1ED005E 00D20905
	v_cmp_u_f32_e64 s[46:47], v106, v106                       // 00000000C7D4: D048002E 0002D56A
	v_add3_u32 v16, v106, v19, 1                               // 00000000C7DC: D1FF0010 0206276A
	v_cndmask_b32_e64 v4, v16, v18, s[46:47]                   // 00000000C7E4: D1000004 00BA2510
	v_cmp_u_f32_e64 s[46:47], v107, v107                       // 00000000C7EC: D048002E 0002D76B
	v_add3_u32 v16, v107, v19, 1                               // 00000000C7F4: D1FF0010 0206276B
	v_cndmask_b32_e64 v5, v16, v18, s[46:47]                   // 00000000C7FC: D1000005 00BA2510
	v_perm_b32 v95, v5, v4, s52                                // 00000000C804: D1ED005F 00D20905
	v_cmp_u_f32_e64 s[46:47], v108, v108                       // 00000000C80C: D048002E 0002D96C
	v_add3_u32 v16, v108, v19, 1                               // 00000000C814: D1FF0010 0206276C
	v_cndmask_b32_e64 v4, v16, v18, s[46:47]                   // 00000000C81C: D1000004 00BA2510
	v_cmp_u_f32_e64 s[46:47], v109, v109                       // 00000000C824: D048002E 0002DB6D
	v_add3_u32 v16, v109, v19, 1                               // 00000000C82C: D1FF0010 0206276D
	v_cndmask_b32_e64 v5, v16, v18, s[46:47]                   // 00000000C834: D1000005 00BA2510
	v_perm_b32 v96, v5, v4, s52                                // 00000000C83C: D1ED0060 00D20905
	v_cmp_u_f32_e64 s[46:47], v110, v110                       // 00000000C844: D048002E 0002DD6E
	v_add3_u32 v16, v110, v19, 1                               // 00000000C84C: D1FF0010 0206276E
	v_cndmask_b32_e64 v4, v16, v18, s[46:47]                   // 00000000C854: D1000004 00BA2510
	v_cmp_u_f32_e64 s[46:47], v111, v111                       // 00000000C85C: D048002E 0002DF6F
	v_add3_u32 v16, v111, v19, 1                               // 00000000C864: D1FF0010 0206276F
	v_cndmask_b32_e64 v5, v16, v18, s[46:47]                   // 00000000C86C: D1000005 00BA2510
	v_perm_b32 v97, v5, v4, s52                                // 00000000C874: D1ED0061 00D20905
	v_cmp_u_f32_e64 s[46:47], v112, v112                       // 00000000C87C: D048002E 0002E170
	v_add3_u32 v16, v112, v19, 1                               // 00000000C884: D1FF0010 02062770
	v_cndmask_b32_e64 v4, v16, v18, s[46:47]                   // 00000000C88C: D1000004 00BA2510
	v_cmp_u_f32_e64 s[46:47], v113, v113                       // 00000000C894: D048002E 0002E371
	v_add3_u32 v16, v113, v19, 1                               // 00000000C89C: D1FF0010 02062771
	v_cndmask_b32_e64 v5, v16, v18, s[46:47]                   // 00000000C8A4: D1000005 00BA2510
	v_perm_b32 v98, v5, v4, s52                                // 00000000C8AC: D1ED0062 00D20905
	v_cmp_u_f32_e64 s[46:47], v114, v114                       // 00000000C8B4: D048002E 0002E572
	v_add3_u32 v16, v114, v19, 1                               // 00000000C8BC: D1FF0010 02062772
	v_cndmask_b32_e64 v4, v16, v18, s[46:47]                   // 00000000C8C4: D1000004 00BA2510
	v_cmp_u_f32_e64 s[46:47], v115, v115                       // 00000000C8CC: D048002E 0002E773
	v_add3_u32 v16, v115, v19, 1                               // 00000000C8D4: D1FF0010 02062773
	v_cndmask_b32_e64 v5, v16, v18, s[46:47]                   // 00000000C8DC: D1000005 00BA2510
	v_perm_b32 v99, v5, v4, s52                                // 00000000C8E4: D1ED0063 00D20905
	v_cmp_u_f32_e64 s[46:47], v116, v116                       // 00000000C8EC: D048002E 0002E974
	v_add3_u32 v16, v116, v19, 1                               // 00000000C8F4: D1FF0010 02062774
	v_cndmask_b32_e64 v4, v16, v18, s[46:47]                   // 00000000C8FC: D1000004 00BA2510
	v_cmp_u_f32_e64 s[46:47], v117, v117                       // 00000000C904: D048002E 0002EB75
	v_add3_u32 v16, v117, v19, 1                               // 00000000C90C: D1FF0010 02062775
	v_cndmask_b32_e64 v5, v16, v18, s[46:47]                   // 00000000C914: D1000005 00BA2510
	v_perm_b32 v100, v5, v4, s52                               // 00000000C91C: D1ED0064 00D20905
	v_cmp_u_f32_e64 s[46:47], v118, v118                       // 00000000C924: D048002E 0002ED76
	v_add3_u32 v16, v118, v19, 1                               // 00000000C92C: D1FF0010 02062776
	v_cndmask_b32_e64 v4, v16, v18, s[46:47]                   // 00000000C934: D1000004 00BA2510
	v_cmp_u_f32_e64 s[46:47], v119, v119                       // 00000000C93C: D048002E 0002EF77
	v_add3_u32 v16, v119, v19, 1                               // 00000000C944: D1FF0010 02062777
	v_cndmask_b32_e64 v5, v16, v18, s[46:47]                   // 00000000C94C: D1000005 00BA2510
	v_perm_b32 v101, v5, v4, s52                               // 00000000C954: D1ED0065 00D20905
	v_cmp_u_f32_e64 s[46:47], v120, v120                       // 00000000C95C: D048002E 0002F178
	v_add3_u32 v16, v120, v19, 1                               // 00000000C964: D1FF0010 02062778
	v_cndmask_b32_e64 v4, v16, v18, s[46:47]                   // 00000000C96C: D1000004 00BA2510
	v_cmp_u_f32_e64 s[46:47], v121, v121                       // 00000000C974: D048002E 0002F379
	v_add3_u32 v16, v121, v19, 1                               // 00000000C97C: D1FF0010 02062779
	v_cndmask_b32_e64 v5, v16, v18, s[46:47]                   // 00000000C984: D1000005 00BA2510
	v_perm_b32 v102, v5, v4, s52                               // 00000000C98C: D1ED0066 00D20905
	v_cmp_u_f32_e64 s[46:47], v122, v122                       // 00000000C994: D048002E 0002F57A
	v_add3_u32 v16, v122, v19, 1                               // 00000000C99C: D1FF0010 0206277A
	v_cndmask_b32_e64 v4, v16, v18, s[46:47]                   // 00000000C9A4: D1000004 00BA2510
	v_cmp_u_f32_e64 s[46:47], v123, v123                       // 00000000C9AC: D048002E 0002F77B
	v_add3_u32 v16, v123, v19, 1                               // 00000000C9B4: D1FF0010 0206277B
	v_cndmask_b32_e64 v5, v16, v18, s[46:47]                   // 00000000C9BC: D1000005 00BA2510
	v_perm_b32 v103, v5, v4, s52                               // 00000000C9C4: D1ED0067 00D20905
	v_cmp_u_f32_e64 s[46:47], v124, v124                       // 00000000C9CC: D048002E 0002F97C
	v_add3_u32 v16, v124, v19, 1                               // 00000000C9D4: D1FF0010 0206277C
	v_cndmask_b32_e64 v4, v16, v18, s[46:47]                   // 00000000C9DC: D1000004 00BA2510
	v_cmp_u_f32_e64 s[46:47], v125, v125                       // 00000000C9E4: D048002E 0002FB7D
	v_add3_u32 v16, v125, v19, 1                               // 00000000C9EC: D1FF0010 0206277D
	v_cndmask_b32_e64 v5, v16, v18, s[46:47]                   // 00000000C9F4: D1000005 00BA2510
	v_perm_b32 v104, v5, v4, s52                               // 00000000C9FC: D1ED0068 00D20905
	v_cmp_u_f32_e64 s[46:47], v126, v126                       // 00000000CA04: D048002E 0002FD7E
	v_add3_u32 v16, v126, v19, 1                               // 00000000CA0C: D1FF0010 0206277E
	v_cndmask_b32_e64 v4, v16, v18, s[46:47]                   // 00000000CA14: D1000004 00BA2510
	v_cmp_u_f32_e64 s[46:47], v127, v127                       // 00000000CA1C: D048002E 0002FF7F
	v_add3_u32 v16, v127, v19, 1                               // 00000000CA24: D1FF0010 0206277F
	v_cndmask_b32_e64 v5, v16, v18, s[46:47]                   // 00000000CA2C: D1000005 00BA2510
	v_perm_b32 v105, v5, v4, s52                               // 00000000CA34: D1ED0069 00D20905
	v_cmp_u_f32_e64 s[46:47], v128, v128                       // 00000000CA3C: D048002E 00030180
	v_add3_u32 v16, v128, v19, 1                               // 00000000CA44: D1FF0010 02062780
	v_cndmask_b32_e64 v4, v16, v18, s[46:47]                   // 00000000CA4C: D1000004 00BA2510
	v_cmp_u_f32_e64 s[46:47], v129, v129                       // 00000000CA54: D048002E 00030381
	v_add3_u32 v16, v129, v19, 1                               // 00000000CA5C: D1FF0010 02062781
	v_cndmask_b32_e64 v5, v16, v18, s[46:47]                   // 00000000CA64: D1000005 00BA2510
	v_perm_b32 v106, v5, v4, s52                               // 00000000CA6C: D1ED006A 00D20905
	v_cmp_u_f32_e64 s[46:47], v130, v130                       // 00000000CA74: D048002E 00030582
	v_add3_u32 v16, v130, v19, 1                               // 00000000CA7C: D1FF0010 02062782
	v_cndmask_b32_e64 v4, v16, v18, s[46:47]                   // 00000000CA84: D1000004 00BA2510
	v_cmp_u_f32_e64 s[46:47], v131, v131                       // 00000000CA8C: D048002E 00030783
	v_add3_u32 v16, v131, v19, 1                               // 00000000CA94: D1FF0010 02062783
	v_cndmask_b32_e64 v5, v16, v18, s[46:47]                   // 00000000CA9C: D1000005 00BA2510
	v_perm_b32 v107, v5, v4, s52                               // 00000000CAA4: D1ED006B 00D20905
	v_cmp_u_f32_e64 s[46:47], v132, v132                       // 00000000CAAC: D048002E 00030984
	v_add3_u32 v16, v132, v19, 1                               // 00000000CAB4: D1FF0010 02062784
	v_cndmask_b32_e64 v4, v16, v18, s[46:47]                   // 00000000CABC: D1000004 00BA2510
	v_cmp_u_f32_e64 s[46:47], v133, v133                       // 00000000CAC4: D048002E 00030B85
	v_add3_u32 v16, v133, v19, 1                               // 00000000CACC: D1FF0010 02062785
	v_cndmask_b32_e64 v5, v16, v18, s[46:47]                   // 00000000CAD4: D1000005 00BA2510
	v_perm_b32 v108, v5, v4, s52                               // 00000000CADC: D1ED006C 00D20905
	v_cmp_u_f32_e64 s[46:47], v134, v134                       // 00000000CAE4: D048002E 00030D86
	v_add3_u32 v16, v134, v19, 1                               // 00000000CAEC: D1FF0010 02062786
	v_cndmask_b32_e64 v4, v16, v18, s[46:47]                   // 00000000CAF4: D1000004 00BA2510
	v_cmp_u_f32_e64 s[46:47], v135, v135                       // 00000000CAFC: D048002E 00030F87
	v_add3_u32 v16, v135, v19, 1                               // 00000000CB04: D1FF0010 02062787
	v_cndmask_b32_e64 v5, v16, v18, s[46:47]                   // 00000000CB0C: D1000005 00BA2510
	v_perm_b32 v109, v5, v4, s52                               // 00000000CB14: D1ED006D 00D20905
	v_cmp_u_f32_e64 s[46:47], v136, v136                       // 00000000CB1C: D048002E 00031188
	v_add3_u32 v16, v136, v19, 1                               // 00000000CB24: D1FF0010 02062788
	v_cndmask_b32_e64 v4, v16, v18, s[46:47]                   // 00000000CB2C: D1000004 00BA2510
	v_cmp_u_f32_e64 s[46:47], v137, v137                       // 00000000CB34: D048002E 00031389
	v_add3_u32 v16, v137, v19, 1                               // 00000000CB3C: D1FF0010 02062789
	v_cndmask_b32_e64 v5, v16, v18, s[46:47]                   // 00000000CB44: D1000005 00BA2510
	v_perm_b32 v110, v5, v4, s52                               // 00000000CB4C: D1ED006E 00D20905
	v_cmp_u_f32_e64 s[46:47], v138, v138                       // 00000000CB54: D048002E 0003158A
	v_add3_u32 v16, v138, v19, 1                               // 00000000CB5C: D1FF0010 0206278A
	v_cndmask_b32_e64 v4, v16, v18, s[46:47]                   // 00000000CB64: D1000004 00BA2510
	v_cmp_u_f32_e64 s[46:47], v139, v139                       // 00000000CB6C: D048002E 0003178B
	v_add3_u32 v16, v139, v19, 1                               // 00000000CB74: D1FF0010 0206278B
	v_cndmask_b32_e64 v5, v16, v18, s[46:47]                   // 00000000CB7C: D1000005 00BA2510
	v_perm_b32 v111, v5, v4, s52                               // 00000000CB84: D1ED006F 00D20905
	v_cmp_u_f32_e64 s[46:47], v140, v140                       // 00000000CB8C: D048002E 0003198C
	v_add3_u32 v16, v140, v19, 1                               // 00000000CB94: D1FF0010 0206278C
	v_cndmask_b32_e64 v4, v16, v18, s[46:47]                   // 00000000CB9C: D1000004 00BA2510
	v_cmp_u_f32_e64 s[46:47], v141, v141                       // 00000000CBA4: D048002E 00031B8D
	v_add3_u32 v16, v141, v19, 1                               // 00000000CBAC: D1FF0010 0206278D
	v_cndmask_b32_e64 v5, v16, v18, s[46:47]                   // 00000000CBB4: D1000005 00BA2510
	v_perm_b32 v112, v5, v4, s52                               // 00000000CBBC: D1ED0070 00D20905
	v_cmp_u_f32_e64 s[46:47], v142, v142                       // 00000000CBC4: D048002E 00031D8E
	v_add3_u32 v16, v142, v19, 1                               // 00000000CBCC: D1FF0010 0206278E
	v_cndmask_b32_e64 v4, v16, v18, s[46:47]                   // 00000000CBD4: D1000004 00BA2510
	v_cmp_u_f32_e64 s[46:47], v143, v143                       // 00000000CBDC: D048002E 00031F8F
	v_add3_u32 v16, v143, v19, 1                               // 00000000CBE4: D1FF0010 0206278F
	v_cndmask_b32_e64 v5, v16, v18, s[46:47]                   // 00000000CBEC: D1000005 00BA2510
	v_perm_b32 v113, v5, v4, s52                               // 00000000CBF4: D1ED0071 00D20905
	v_cmp_u_f32_e64 s[46:47], v144, v144                       // 00000000CBFC: D048002E 00032190
	v_add3_u32 v16, v144, v19, 1                               // 00000000CC04: D1FF0010 02062790
	v_cndmask_b32_e64 v4, v16, v18, s[46:47]                   // 00000000CC0C: D1000004 00BA2510
	v_cmp_u_f32_e64 s[46:47], v145, v145                       // 00000000CC14: D048002E 00032391
	v_add3_u32 v16, v145, v19, 1                               // 00000000CC1C: D1FF0010 02062791
	v_cndmask_b32_e64 v5, v16, v18, s[46:47]                   // 00000000CC24: D1000005 00BA2510
	v_perm_b32 v114, v5, v4, s52                               // 00000000CC2C: D1ED0072 00D20905
	v_cmp_u_f32_e64 s[46:47], v146, v146                       // 00000000CC34: D048002E 00032592
	v_add3_u32 v16, v146, v19, 1                               // 00000000CC3C: D1FF0010 02062792
	v_cndmask_b32_e64 v4, v16, v18, s[46:47]                   // 00000000CC44: D1000004 00BA2510
	v_cmp_u_f32_e64 s[46:47], v147, v147                       // 00000000CC4C: D048002E 00032793
	v_add3_u32 v16, v147, v19, 1                               // 00000000CC54: D1FF0010 02062793
	v_cndmask_b32_e64 v5, v16, v18, s[46:47]                   // 00000000CC5C: D1000005 00BA2510
	v_perm_b32 v115, v5, v4, s52                               // 00000000CC64: D1ED0073 00D20905
	v_cmp_u_f32_e64 s[46:47], v148, v148                       // 00000000CC6C: D048002E 00032994
	v_add3_u32 v16, v148, v19, 1                               // 00000000CC74: D1FF0010 02062794
	v_cndmask_b32_e64 v4, v16, v18, s[46:47]                   // 00000000CC7C: D1000004 00BA2510
	v_cmp_u_f32_e64 s[46:47], v149, v149                       // 00000000CC84: D048002E 00032B95
	v_add3_u32 v16, v149, v19, 1                               // 00000000CC8C: D1FF0010 02062795
	v_cndmask_b32_e64 v5, v16, v18, s[46:47]                   // 00000000CC94: D1000005 00BA2510
	v_perm_b32 v116, v5, v4, s52                               // 00000000CC9C: D1ED0074 00D20905
	v_cmp_u_f32_e64 s[46:47], v150, v150                       // 00000000CCA4: D048002E 00032D96
	v_add3_u32 v16, v150, v19, 1                               // 00000000CCAC: D1FF0010 02062796
	v_cndmask_b32_e64 v4, v16, v18, s[46:47]                   // 00000000CCB4: D1000004 00BA2510
	v_cmp_u_f32_e64 s[46:47], v151, v151                       // 00000000CCBC: D048002E 00032F97
	v_add3_u32 v16, v151, v19, 1                               // 00000000CCC4: D1FF0010 02062797
	v_cndmask_b32_e64 v5, v16, v18, s[46:47]                   // 00000000CCCC: D1000005 00BA2510
	v_perm_b32 v117, v5, v4, s52                               // 00000000CCD4: D1ED0075 00D20905
	v_cmp_u_f32_e64 s[46:47], v152, v152                       // 00000000CCDC: D048002E 00033198
	v_add3_u32 v16, v152, v19, 1                               // 00000000CCE4: D1FF0010 02062798
	v_cndmask_b32_e64 v4, v16, v18, s[46:47]                   // 00000000CCEC: D1000004 00BA2510
	v_cmp_u_f32_e64 s[46:47], v153, v153                       // 00000000CCF4: D048002E 00033399
	v_add3_u32 v16, v153, v19, 1                               // 00000000CCFC: D1FF0010 02062799
	v_cndmask_b32_e64 v5, v16, v18, s[46:47]                   // 00000000CD04: D1000005 00BA2510
	v_perm_b32 v118, v5, v4, s52                               // 00000000CD0C: D1ED0076 00D20905
	v_cmp_u_f32_e64 s[46:47], v154, v154                       // 00000000CD14: D048002E 0003359A
	v_add3_u32 v16, v154, v19, 1                               // 00000000CD1C: D1FF0010 0206279A
	v_cndmask_b32_e64 v4, v16, v18, s[46:47]                   // 00000000CD24: D1000004 00BA2510
	v_cmp_u_f32_e64 s[46:47], v155, v155                       // 00000000CD2C: D048002E 0003379B
	v_add3_u32 v16, v155, v19, 1                               // 00000000CD34: D1FF0010 0206279B
	v_cndmask_b32_e64 v5, v16, v18, s[46:47]                   // 00000000CD3C: D1000005 00BA2510
	v_perm_b32 v119, v5, v4, s52                               // 00000000CD44: D1ED0077 00D20905
	ds_write_b64 v20, v[84:85]                                 // 00000000CD4C: D89A0000 00005414
	ds_write_b64 v20, v[86:87] offset:4352                     // 00000000CD54: D89A1100 00005614
	ds_write_b64 v20, v[88:89] offset:8704                     // 00000000CD5C: D89A2200 00005814
	ds_write_b64 v20, v[90:91] offset:13056                    // 00000000CD64: D89A3300 00005A14
	ds_write_b64 v20, v[92:93] offset:17408                    // 00000000CD6C: D89A4400 00005C14
	ds_write_b64 v20, v[94:95] offset:21760                    // 00000000CD74: D89A5500 00005E14
	ds_write_b64 v20, v[96:97] offset:26112                    // 00000000CD7C: D89A6600 00006014
	ds_write_b64 v20, v[98:99] offset:30464                    // 00000000CD84: D89A7700 00006214
	ds_write_b64 v20, v[100:101] offset:34816                  // 00000000CD8C: D89A8800 00006414
	ds_write_b64 v20, v[102:103] offset:2176                   // 00000000CD94: D89A0880 00006614
	ds_write_b64 v20, v[104:105] offset:6528                   // 00000000CD9C: D89A1980 00006814
	ds_write_b64 v20, v[106:107] offset:10880                  // 00000000CDA4: D89A2A80 00006A14
	ds_write_b64 v20, v[108:109] offset:15232                  // 00000000CDAC: D89A3B80 00006C14
	ds_write_b64 v20, v[110:111] offset:19584                  // 00000000CDB4: D89A4C80 00006E14
	ds_write_b64 v20, v[112:113] offset:23936                  // 00000000CDBC: D89A5D80 00007014
	ds_write_b64 v20, v[114:115] offset:28288                  // 00000000CDC4: D89A6E80 00007214
	ds_write_b64 v20, v[116:117] offset:32640                  // 00000000CDCC: D89A7F80 00007414
	ds_write_b64 v20, v[118:119] offset:36992                  // 00000000CDD4: D89A9080 00007614
	v_lshrrev_b32_e32 v4, 5, v0                                // 00000000CDDC: 20080085
	v_xor_b32_e32 v5, 1, v4                                    // 00000000CDE0: 2A0A0881
	s_mul_i32 s60, s65, 2                                      // 00000000CDE4: 923C8241
	s_cmp_eq_u32 s88, 0                                        // 00000000CDE8: BF068058
	s_cselect_b32 s61, 1, 4                                    // 00000000CDEC: 853D8481
	s_mul_i32 s60, s61, s60                                    // 00000000CDF0: 923C3C3D
	v_readlane_b32 s82, v3, 0                                  // 00000000CDF4: D2890052 00010103
	s_lshr_b32 s61, s82, 24                                    // 00000000CDFC: 8F3D9852
	s_and_b32 s82, s82, 0xffffff                               // 00000000CE00: 8652FF52 00FFFFFF
	s_mul_i32 s82, s82, s71                                    // 00000000CE08: 92524752
	s_mul_i32 s61, s60, s61                                    // 00000000CE0C: 923D3D3C
	s_add_u32 s82, s82, s61                                    // 00000000CE10: 80523D52
	v_mul_lo_u32 v6, v5, s82                                   // 00000000CE14: D2850006 0000A505
	v_readlane_b32 s82, v3, 1                                  // 00000000CE1C: D2890052 00010303
	s_lshr_b32 s61, s82, 24                                    // 00000000CE24: 8F3D9852
	s_and_b32 s82, s82, 0xffffff                               // 00000000CE28: 8652FF52 00FFFFFF
	s_mul_i32 s82, s82, s71                                    // 00000000CE30: 92524752
	s_mul_i32 s61, s60, s61                                    // 00000000CE34: 923D3D3C
	s_add_u32 s82, s82, s61                                    // 00000000CE38: 80523D52
	v_mul_lo_u32 v7, v4, s82                                   // 00000000CE3C: D2850007 0000A504
	v_add_u32_e32 v64, v6, v7                                  // 00000000CE44: 68800F06
	v_readlane_b32 s82, v3, 2                                  // 00000000CE48: D2890052 00010503
	s_lshr_b32 s61, s82, 24                                    // 00000000CE50: 8F3D9852
	s_and_b32 s82, s82, 0xffffff                               // 00000000CE54: 8652FF52 00FFFFFF
	s_mul_i32 s82, s82, s71                                    // 00000000CE5C: 92524752
	s_mul_i32 s61, s60, s61                                    // 00000000CE60: 923D3D3C
	s_add_u32 s82, s82, s61                                    // 00000000CE64: 80523D52
	v_mul_lo_u32 v6, v5, s82                                   // 00000000CE68: D2850006 0000A505
	v_readlane_b32 s82, v3, 3                                  // 00000000CE70: D2890052 00010703
	s_lshr_b32 s61, s82, 24                                    // 00000000CE78: 8F3D9852
	s_and_b32 s82, s82, 0xffffff                               // 00000000CE7C: 8652FF52 00FFFFFF
	s_mul_i32 s82, s82, s71                                    // 00000000CE84: 92524752
	s_mul_i32 s61, s60, s61                                    // 00000000CE88: 923D3D3C
	s_add_u32 s82, s82, s61                                    // 00000000CE8C: 80523D52
	v_mul_lo_u32 v7, v4, s82                                   // 00000000CE90: D2850007 0000A504
	v_add_u32_e32 v65, v6, v7                                  // 00000000CE98: 68820F06
	v_readlane_b32 s82, v3, 4                                  // 00000000CE9C: D2890052 00010903
	s_lshr_b32 s61, s82, 24                                    // 00000000CEA4: 8F3D9852
	s_and_b32 s82, s82, 0xffffff                               // 00000000CEA8: 8652FF52 00FFFFFF
	s_mul_i32 s82, s82, s71                                    // 00000000CEB0: 92524752
	s_mul_i32 s61, s60, s61                                    // 00000000CEB4: 923D3D3C
	s_add_u32 s82, s82, s61                                    // 00000000CEB8: 80523D52
	v_mul_lo_u32 v6, v5, s82                                   // 00000000CEBC: D2850006 0000A505
	v_readlane_b32 s82, v3, 5                                  // 00000000CEC4: D2890052 00010B03
	s_lshr_b32 s61, s82, 24                                    // 00000000CECC: 8F3D9852
	s_and_b32 s82, s82, 0xffffff                               // 00000000CED0: 8652FF52 00FFFFFF
	s_mul_i32 s82, s82, s71                                    // 00000000CED8: 92524752
	s_mul_i32 s61, s60, s61                                    // 00000000CEDC: 923D3D3C
	s_add_u32 s82, s82, s61                                    // 00000000CEE0: 80523D52
	v_mul_lo_u32 v7, v4, s82                                   // 00000000CEE4: D2850007 0000A504
	v_add_u32_e32 v66, v6, v7                                  // 00000000CEEC: 68840F06
	v_readlane_b32 s82, v3, 6                                  // 00000000CEF0: D2890052 00010D03
	s_lshr_b32 s61, s82, 24                                    // 00000000CEF8: 8F3D9852
	s_and_b32 s82, s82, 0xffffff                               // 00000000CEFC: 8652FF52 00FFFFFF
	s_mul_i32 s82, s82, s71                                    // 00000000CF04: 92524752
	s_mul_i32 s61, s60, s61                                    // 00000000CF08: 923D3D3C
	s_add_u32 s82, s82, s61                                    // 00000000CF0C: 80523D52
	v_mul_lo_u32 v6, v5, s82                                   // 00000000CF10: D2850006 0000A505
	v_readlane_b32 s82, v3, 7                                  // 00000000CF18: D2890052 00010F03
	s_lshr_b32 s61, s82, 24                                    // 00000000CF20: 8F3D9852
	s_and_b32 s82, s82, 0xffffff                               // 00000000CF24: 8652FF52 00FFFFFF
	s_mul_i32 s82, s82, s71                                    // 00000000CF2C: 92524752
	s_mul_i32 s61, s60, s61                                    // 00000000CF30: 923D3D3C
	s_add_u32 s82, s82, s61                                    // 00000000CF34: 80523D52
	v_mul_lo_u32 v7, v4, s82                                   // 00000000CF38: D2850007 0000A504
	v_add_u32_e32 v67, v6, v7                                  // 00000000CF40: 68860F06
	v_readlane_b32 s82, v3, 8                                  // 00000000CF44: D2890052 00011103
	s_lshr_b32 s61, s82, 24                                    // 00000000CF4C: 8F3D9852
	s_and_b32 s82, s82, 0xffffff                               // 00000000CF50: 8652FF52 00FFFFFF
	s_mul_i32 s82, s82, s71                                    // 00000000CF58: 92524752
	s_mul_i32 s61, s60, s61                                    // 00000000CF5C: 923D3D3C
	s_add_u32 s82, s82, s61                                    // 00000000CF60: 80523D52
	v_mul_lo_u32 v6, v5, s82                                   // 00000000CF64: D2850006 0000A505
	v_readlane_b32 s82, v3, 9                                  // 00000000CF6C: D2890052 00011303
	s_lshr_b32 s61, s82, 24                                    // 00000000CF74: 8F3D9852
	s_and_b32 s82, s82, 0xffffff                               // 00000000CF78: 8652FF52 00FFFFFF
	s_mul_i32 s82, s82, s71                                    // 00000000CF80: 92524752
	s_mul_i32 s61, s60, s61                                    // 00000000CF84: 923D3D3C
	s_add_u32 s82, s82, s61                                    // 00000000CF88: 80523D52
	v_mul_lo_u32 v7, v4, s82                                   // 00000000CF8C: D2850007 0000A504
	v_add_u32_e32 v68, v6, v7                                  // 00000000CF94: 68880F06
	v_readlane_b32 s82, v3, 10                                 // 00000000CF98: D2890052 00011503
	s_lshr_b32 s61, s82, 24                                    // 00000000CFA0: 8F3D9852
	s_and_b32 s82, s82, 0xffffff                               // 00000000CFA4: 8652FF52 00FFFFFF
	s_mul_i32 s82, s82, s71                                    // 00000000CFAC: 92524752
	s_mul_i32 s61, s60, s61                                    // 00000000CFB0: 923D3D3C
	s_add_u32 s82, s82, s61                                    // 00000000CFB4: 80523D52
	v_mul_lo_u32 v6, v5, s82                                   // 00000000CFB8: D2850006 0000A505
	v_readlane_b32 s82, v3, 11                                 // 00000000CFC0: D2890052 00011703
	s_lshr_b32 s61, s82, 24                                    // 00000000CFC8: 8F3D9852
	s_and_b32 s82, s82, 0xffffff                               // 00000000CFCC: 8652FF52 00FFFFFF
	s_mul_i32 s82, s82, s71                                    // 00000000CFD4: 92524752
	s_mul_i32 s61, s60, s61                                    // 00000000CFD8: 923D3D3C
	s_add_u32 s82, s82, s61                                    // 00000000CFDC: 80523D52
	v_mul_lo_u32 v7, v4, s82                                   // 00000000CFE0: D2850007 0000A504
	v_add_u32_e32 v69, v6, v7                                  // 00000000CFE8: 688A0F06
	v_readlane_b32 s82, v3, 12                                 // 00000000CFEC: D2890052 00011903
	s_lshr_b32 s61, s82, 24                                    // 00000000CFF4: 8F3D9852
	s_and_b32 s82, s82, 0xffffff                               // 00000000CFF8: 8652FF52 00FFFFFF
	s_mul_i32 s82, s82, s71                                    // 00000000D000: 92524752
	s_mul_i32 s61, s60, s61                                    // 00000000D004: 923D3D3C
	s_add_u32 s82, s82, s61                                    // 00000000D008: 80523D52
	v_mul_lo_u32 v6, v5, s82                                   // 00000000D00C: D2850006 0000A505
	v_readlane_b32 s82, v3, 13                                 // 00000000D014: D2890052 00011B03
	s_lshr_b32 s61, s82, 24                                    // 00000000D01C: 8F3D9852
	s_and_b32 s82, s82, 0xffffff                               // 00000000D020: 8652FF52 00FFFFFF
	s_mul_i32 s82, s82, s71                                    // 00000000D028: 92524752
	s_mul_i32 s61, s60, s61                                    // 00000000D02C: 923D3D3C
	s_add_u32 s82, s82, s61                                    // 00000000D030: 80523D52
	v_mul_lo_u32 v7, v4, s82                                   // 00000000D034: D2850007 0000A504
	v_add_u32_e32 v70, v6, v7                                  // 00000000D03C: 688C0F06
	v_readlane_b32 s82, v3, 14                                 // 00000000D040: D2890052 00011D03
	s_lshr_b32 s61, s82, 24                                    // 00000000D048: 8F3D9852
	s_and_b32 s82, s82, 0xffffff                               // 00000000D04C: 8652FF52 00FFFFFF
	s_mul_i32 s82, s82, s71                                    // 00000000D054: 92524752
	s_mul_i32 s61, s60, s61                                    // 00000000D058: 923D3D3C
	s_add_u32 s82, s82, s61                                    // 00000000D05C: 80523D52
	v_mul_lo_u32 v6, v5, s82                                   // 00000000D060: D2850006 0000A505
	v_readlane_b32 s82, v3, 15                                 // 00000000D068: D2890052 00011F03
	s_lshr_b32 s61, s82, 24                                    // 00000000D070: 8F3D9852
	s_and_b32 s82, s82, 0xffffff                               // 00000000D074: 8652FF52 00FFFFFF
	s_mul_i32 s82, s82, s71                                    // 00000000D07C: 92524752
	s_mul_i32 s61, s60, s61                                    // 00000000D080: 923D3D3C
	s_add_u32 s82, s82, s61                                    // 00000000D084: 80523D52
	v_mul_lo_u32 v7, v4, s82                                   // 00000000D088: D2850007 0000A504
	v_add_u32_e32 v71, v6, v7                                  // 00000000D090: 688E0F06
	v_readlane_b32 s82, v3, 16                                 // 00000000D094: D2890052 00012103
	s_lshr_b32 s61, s82, 24                                    // 00000000D09C: 8F3D9852
	s_and_b32 s82, s82, 0xffffff                               // 00000000D0A0: 8652FF52 00FFFFFF
	s_mul_i32 s82, s82, s71                                    // 00000000D0A8: 92524752
	s_mul_i32 s61, s60, s61                                    // 00000000D0AC: 923D3D3C
	s_add_u32 s82, s82, s61                                    // 00000000D0B0: 80523D52
	v_mul_lo_u32 v6, v5, s82                                   // 00000000D0B4: D2850006 0000A505
	v_readlane_b32 s82, v3, 17                                 // 00000000D0BC: D2890052 00012303
	s_lshr_b32 s61, s82, 24                                    // 00000000D0C4: 8F3D9852
	s_and_b32 s82, s82, 0xffffff                               // 00000000D0C8: 8652FF52 00FFFFFF
	s_mul_i32 s82, s82, s71                                    // 00000000D0D0: 92524752
	s_mul_i32 s61, s60, s61                                    // 00000000D0D4: 923D3D3C
	s_add_u32 s82, s82, s61                                    // 00000000D0D8: 80523D52
	v_mul_lo_u32 v7, v4, s82                                   // 00000000D0DC: D2850007 0000A504
	v_add_u32_e32 v72, v6, v7                                  // 00000000D0E4: 68900F06
	v_readlane_b32 s82, v3, 18                                 // 00000000D0E8: D2890052 00012503
	s_lshr_b32 s61, s82, 24                                    // 00000000D0F0: 8F3D9852
	s_and_b32 s82, s82, 0xffffff                               // 00000000D0F4: 8652FF52 00FFFFFF
	s_mul_i32 s82, s82, s71                                    // 00000000D0FC: 92524752
	s_mul_i32 s61, s60, s61                                    // 00000000D100: 923D3D3C
	s_add_u32 s82, s82, s61                                    // 00000000D104: 80523D52
	v_mul_lo_u32 v6, v5, s82                                   // 00000000D108: D2850006 0000A505
	v_readlane_b32 s82, v3, 19                                 // 00000000D110: D2890052 00012703
	s_lshr_b32 s61, s82, 24                                    // 00000000D118: 8F3D9852
	s_and_b32 s82, s82, 0xffffff                               // 00000000D11C: 8652FF52 00FFFFFF
	s_mul_i32 s82, s82, s71                                    // 00000000D124: 92524752
	s_mul_i32 s61, s60, s61                                    // 00000000D128: 923D3D3C
	s_add_u32 s82, s82, s61                                    // 00000000D12C: 80523D52
	v_mul_lo_u32 v7, v4, s82                                   // 00000000D130: D2850007 0000A504
	v_add_u32_e32 v73, v6, v7                                  // 00000000D138: 68920F06
	v_readlane_b32 s82, v3, 20                                 // 00000000D13C: D2890052 00012903
	s_lshr_b32 s61, s82, 24                                    // 00000000D144: 8F3D9852
	s_and_b32 s82, s82, 0xffffff                               // 00000000D148: 8652FF52 00FFFFFF
	s_mul_i32 s82, s82, s71                                    // 00000000D150: 92524752
	s_mul_i32 s61, s60, s61                                    // 00000000D154: 923D3D3C
	s_add_u32 s82, s82, s61                                    // 00000000D158: 80523D52
	v_mul_lo_u32 v6, v5, s82                                   // 00000000D15C: D2850006 0000A505
	v_readlane_b32 s82, v3, 21                                 // 00000000D164: D2890052 00012B03
	s_lshr_b32 s61, s82, 24                                    // 00000000D16C: 8F3D9852
	s_and_b32 s82, s82, 0xffffff                               // 00000000D170: 8652FF52 00FFFFFF
	s_mul_i32 s82, s82, s71                                    // 00000000D178: 92524752
	s_mul_i32 s61, s60, s61                                    // 00000000D17C: 923D3D3C
	s_add_u32 s82, s82, s61                                    // 00000000D180: 80523D52
	v_mul_lo_u32 v7, v4, s82                                   // 00000000D184: D2850007 0000A504
	v_add_u32_e32 v74, v6, v7                                  // 00000000D18C: 68940F06
	v_readlane_b32 s82, v3, 22                                 // 00000000D190: D2890052 00012D03
	s_lshr_b32 s61, s82, 24                                    // 00000000D198: 8F3D9852
	s_and_b32 s82, s82, 0xffffff                               // 00000000D19C: 8652FF52 00FFFFFF
	s_mul_i32 s82, s82, s71                                    // 00000000D1A4: 92524752
	s_mul_i32 s61, s60, s61                                    // 00000000D1A8: 923D3D3C
	s_add_u32 s82, s82, s61                                    // 00000000D1AC: 80523D52
	v_mul_lo_u32 v6, v5, s82                                   // 00000000D1B0: D2850006 0000A505
	v_readlane_b32 s82, v3, 23                                 // 00000000D1B8: D2890052 00012F03
	s_lshr_b32 s61, s82, 24                                    // 00000000D1C0: 8F3D9852
	s_and_b32 s82, s82, 0xffffff                               // 00000000D1C4: 8652FF52 00FFFFFF
	s_mul_i32 s82, s82, s71                                    // 00000000D1CC: 92524752
	s_mul_i32 s61, s60, s61                                    // 00000000D1D0: 923D3D3C
	s_add_u32 s82, s82, s61                                    // 00000000D1D4: 80523D52
	v_mul_lo_u32 v7, v4, s82                                   // 00000000D1D8: D2850007 0000A504
	v_add_u32_e32 v75, v6, v7                                  // 00000000D1E0: 68960F06
	v_readlane_b32 s82, v3, 24                                 // 00000000D1E4: D2890052 00013103
	s_lshr_b32 s61, s82, 24                                    // 00000000D1EC: 8F3D9852
	s_and_b32 s82, s82, 0xffffff                               // 00000000D1F0: 8652FF52 00FFFFFF
	s_mul_i32 s82, s82, s71                                    // 00000000D1F8: 92524752
	s_mul_i32 s61, s60, s61                                    // 00000000D1FC: 923D3D3C
	s_add_u32 s82, s82, s61                                    // 00000000D200: 80523D52
	v_mul_lo_u32 v6, v5, s82                                   // 00000000D204: D2850006 0000A505
	v_readlane_b32 s82, v3, 25                                 // 00000000D20C: D2890052 00013303
	s_lshr_b32 s61, s82, 24                                    // 00000000D214: 8F3D9852
	s_and_b32 s82, s82, 0xffffff                               // 00000000D218: 8652FF52 00FFFFFF
	s_mul_i32 s82, s82, s71                                    // 00000000D220: 92524752
	s_mul_i32 s61, s60, s61                                    // 00000000D224: 923D3D3C
	s_add_u32 s82, s82, s61                                    // 00000000D228: 80523D52
	v_mul_lo_u32 v7, v4, s82                                   // 00000000D22C: D2850007 0000A504
	v_add_u32_e32 v76, v6, v7                                  // 00000000D234: 68980F06
	v_readlane_b32 s82, v3, 26                                 // 00000000D238: D2890052 00013503
	s_lshr_b32 s61, s82, 24                                    // 00000000D240: 8F3D9852
	s_and_b32 s82, s82, 0xffffff                               // 00000000D244: 8652FF52 00FFFFFF
	s_mul_i32 s82, s82, s71                                    // 00000000D24C: 92524752
	s_mul_i32 s61, s60, s61                                    // 00000000D250: 923D3D3C
	s_add_u32 s82, s82, s61                                    // 00000000D254: 80523D52
	v_mul_lo_u32 v6, v5, s82                                   // 00000000D258: D2850006 0000A505
	v_readlane_b32 s82, v3, 27                                 // 00000000D260: D2890052 00013703
	s_lshr_b32 s61, s82, 24                                    // 00000000D268: 8F3D9852
	s_and_b32 s82, s82, 0xffffff                               // 00000000D26C: 8652FF52 00FFFFFF
	s_mul_i32 s82, s82, s71                                    // 00000000D274: 92524752
	s_mul_i32 s61, s60, s61                                    // 00000000D278: 923D3D3C
	s_add_u32 s82, s82, s61                                    // 00000000D27C: 80523D52
	v_mul_lo_u32 v7, v4, s82                                   // 00000000D280: D2850007 0000A504
	v_add_u32_e32 v77, v6, v7                                  // 00000000D288: 689A0F06
	v_readlane_b32 s82, v3, 28                                 // 00000000D28C: D2890052 00013903
	s_lshr_b32 s61, s82, 24                                    // 00000000D294: 8F3D9852
	s_and_b32 s82, s82, 0xffffff                               // 00000000D298: 8652FF52 00FFFFFF
	s_mul_i32 s82, s82, s71                                    // 00000000D2A0: 92524752
	s_mul_i32 s61, s60, s61                                    // 00000000D2A4: 923D3D3C
	s_add_u32 s82, s82, s61                                    // 00000000D2A8: 80523D52
	v_mul_lo_u32 v6, v5, s82                                   // 00000000D2AC: D2850006 0000A505
	v_readlane_b32 s82, v3, 29                                 // 00000000D2B4: D2890052 00013B03
	s_lshr_b32 s61, s82, 24                                    // 00000000D2BC: 8F3D9852
	s_and_b32 s82, s82, 0xffffff                               // 00000000D2C0: 8652FF52 00FFFFFF
	s_mul_i32 s82, s82, s71                                    // 00000000D2C8: 92524752
	s_mul_i32 s61, s60, s61                                    // 00000000D2CC: 923D3D3C
	s_add_u32 s82, s82, s61                                    // 00000000D2D0: 80523D52
	v_mul_lo_u32 v7, v4, s82                                   // 00000000D2D4: D2850007 0000A504
	v_add_u32_e32 v78, v6, v7                                  // 00000000D2DC: 689C0F06
	v_readlane_b32 s82, v3, 30                                 // 00000000D2E0: D2890052 00013D03
	s_lshr_b32 s61, s82, 24                                    // 00000000D2E8: 8F3D9852
	s_and_b32 s82, s82, 0xffffff                               // 00000000D2EC: 8652FF52 00FFFFFF
	s_mul_i32 s82, s82, s71                                    // 00000000D2F4: 92524752
	s_mul_i32 s61, s60, s61                                    // 00000000D2F8: 923D3D3C
	s_add_u32 s82, s82, s61                                    // 00000000D2FC: 80523D52
	v_mul_lo_u32 v6, v5, s82                                   // 00000000D300: D2850006 0000A505
	v_readlane_b32 s82, v3, 31                                 // 00000000D308: D2890052 00013F03
	s_lshr_b32 s61, s82, 24                                    // 00000000D310: 8F3D9852
	s_and_b32 s82, s82, 0xffffff                               // 00000000D314: 8652FF52 00FFFFFF
	s_mul_i32 s82, s82, s71                                    // 00000000D31C: 92524752
	s_mul_i32 s61, s60, s61                                    // 00000000D320: 923D3D3C
	s_add_u32 s82, s82, s61                                    // 00000000D324: 80523D52
	v_mul_lo_u32 v7, v4, s82                                   // 00000000D328: D2850007 0000A504
	v_add_u32_e32 v79, v6, v7                                  // 00000000D330: 689E0F06
	v_readlane_b32 s82, v3, 32                                 // 00000000D334: D2890052 00014103
	s_lshr_b32 s61, s82, 24                                    // 00000000D33C: 8F3D9852
	s_and_b32 s82, s82, 0xffffff                               // 00000000D340: 8652FF52 00FFFFFF
	s_mul_i32 s82, s82, s71                                    // 00000000D348: 92524752
	s_mul_i32 s61, s60, s61                                    // 00000000D34C: 923D3D3C
	s_add_u32 s82, s82, s61                                    // 00000000D350: 80523D52
	v_mul_lo_u32 v6, v5, s82                                   // 00000000D354: D2850006 0000A505
	v_readlane_b32 s82, v3, 33                                 // 00000000D35C: D2890052 00014303
	s_lshr_b32 s61, s82, 24                                    // 00000000D364: 8F3D9852
	s_and_b32 s82, s82, 0xffffff                               // 00000000D368: 8652FF52 00FFFFFF
	s_mul_i32 s82, s82, s71                                    // 00000000D370: 92524752
	s_mul_i32 s61, s60, s61                                    // 00000000D374: 923D3D3C
	s_add_u32 s82, s82, s61                                    // 00000000D378: 80523D52
	v_mul_lo_u32 v7, v4, s82                                   // 00000000D37C: D2850007 0000A504
	v_add_u32_e32 v80, v6, v7                                  // 00000000D384: 68A00F06
	v_readlane_b32 s82, v3, 34                                 // 00000000D388: D2890052 00014503
	s_lshr_b32 s61, s82, 24                                    // 00000000D390: 8F3D9852
	s_and_b32 s82, s82, 0xffffff                               // 00000000D394: 8652FF52 00FFFFFF
	s_mul_i32 s82, s82, s71                                    // 00000000D39C: 92524752
	s_mul_i32 s61, s60, s61                                    // 00000000D3A0: 923D3D3C
	s_add_u32 s82, s82, s61                                    // 00000000D3A4: 80523D52
	v_mul_lo_u32 v6, v5, s82                                   // 00000000D3A8: D2850006 0000A505
	v_readlane_b32 s82, v3, 35                                 // 00000000D3B0: D2890052 00014703
	s_lshr_b32 s61, s82, 24                                    // 00000000D3B8: 8F3D9852
	s_and_b32 s82, s82, 0xffffff                               // 00000000D3BC: 8652FF52 00FFFFFF
	s_mul_i32 s82, s82, s71                                    // 00000000D3C4: 92524752
	s_mul_i32 s61, s60, s61                                    // 00000000D3C8: 923D3D3C
	s_add_u32 s82, s82, s61                                    // 00000000D3CC: 80523D52
	v_mul_lo_u32 v7, v4, s82                                   // 00000000D3D0: D2850007 0000A504
	v_add_u32_e32 v81, v6, v7                                  // 00000000D3D8: 68A20F06
	v_and_b32_e32 v4, 31, v0                                   // 00000000D3DC: 2608009F
	v_lshrrev_b32_e32 v4, 1, v4                                // 00000000D3E0: 20080881
	s_cmp_eq_u32 s88, 0                                        // 00000000D3E4: BF068058
	s_cselect_b32 s61, 2, 4                                    // 00000000D3E8: 853D8482
	v_mul_lo_u32 v4, v4, s61                                   // 00000000D3EC: D2850004 00007B04
	v_and_b32_e64 v5, v0, 1                                    // 00000000D3F4: D1130005 00010300
	v_add_u32_e32 v4, v4, v5                                   // 00000000D3FC: 68080B04
	v_lshlrev_b32_e32 v4, 2, v4                                // 00000000D400: 24080882
	v_add_u32_e32 v64, v64, v4                                 // 00000000D404: 68800940
	v_add_u32_e32 v65, v65, v4                                 // 00000000D408: 68820941
	v_add_u32_e32 v66, v66, v4                                 // 00000000D40C: 68840942
	v_add_u32_e32 v67, v67, v4                                 // 00000000D410: 68860943
	v_add_u32_e32 v68, v68, v4                                 // 00000000D414: 68880944
	v_add_u32_e32 v69, v69, v4                                 // 00000000D418: 688A0945
	v_add_u32_e32 v70, v70, v4                                 // 00000000D41C: 688C0946
	v_add_u32_e32 v71, v71, v4                                 // 00000000D420: 688E0947
	v_add_u32_e32 v72, v72, v4                                 // 00000000D424: 68900948
	v_add_u32_e32 v73, v73, v4                                 // 00000000D428: 68920949
	v_add_u32_e32 v74, v74, v4                                 // 00000000D42C: 6894094A
	v_add_u32_e32 v75, v75, v4                                 // 00000000D430: 6896094B
	v_add_u32_e32 v76, v76, v4                                 // 00000000D434: 6898094C
	v_add_u32_e32 v77, v77, v4                                 // 00000000D438: 689A094D
	v_add_u32_e32 v78, v78, v4                                 // 00000000D43C: 689C094E
	v_add_u32_e32 v79, v79, v4                                 // 00000000D440: 689E094F
	v_add_u32_e32 v80, v80, v4                                 // 00000000D444: 68A00950
	v_add_u32_e32 v81, v81, v4                                 // 00000000D448: 68A20951
	s_waitcnt lgkmcnt(0)                                       // 00000000D44C: BF8CC07F
	s_barrier                                                  // 00000000D450: BF8A0000
	ds_read_b32 v84, v21                                       // 00000000D454: D86C0000 54000015
	ds_read_b32 v85, v21 offset:64                             // 00000000D45C: D86C0040 55000015
	ds_read_b32 v86, v21 offset:2176                           // 00000000D464: D86C0880 56000015
	ds_read_b32 v87, v21 offset:2240                           // 00000000D46C: D86C08C0 57000015
	ds_read_b32 v88, v21 offset:4352                           // 00000000D474: D86C1100 58000015
	ds_read_b32 v89, v21 offset:4416                           // 00000000D47C: D86C1140 59000015
	ds_read_b32 v90, v21 offset:6528                           // 00000000D484: D86C1980 5A000015
	ds_read_b32 v91, v21 offset:6592                           // 00000000D48C: D86C19C0 5B000015
	ds_read_b32 v92, v21 offset:8704                           // 00000000D494: D86C2200 5C000015
	ds_read_b32 v93, v21 offset:8768                           // 00000000D49C: D86C2240 5D000015
	ds_read_b32 v94, v21 offset:10880                          // 00000000D4A4: D86C2A80 5E000015
	ds_read_b32 v95, v21 offset:10944                          // 00000000D4AC: D86C2AC0 5F000015
	ds_read_b32 v96, v21 offset:13056                          // 00000000D4B4: D86C3300 60000015
	ds_read_b32 v97, v21 offset:13120                          // 00000000D4BC: D86C3340 61000015
	ds_read_b32 v98, v21 offset:15232                          // 00000000D4C4: D86C3B80 62000015
	ds_read_b32 v99, v21 offset:15296                          // 00000000D4CC: D86C3BC0 63000015
	ds_read_b32 v100, v21 offset:17408                         // 00000000D4D4: D86C4400 64000015
	ds_read_b32 v101, v21 offset:17472                         // 00000000D4DC: D86C4440 65000015
	ds_read_b32 v102, v21 offset:19584                         // 00000000D4E4: D86C4C80 66000015
	ds_read_b32 v103, v21 offset:19648                         // 00000000D4EC: D86C4CC0 67000015
	ds_read_b32 v104, v21 offset:21760                         // 00000000D4F4: D86C5500 68000015
	ds_read_b32 v105, v21 offset:21824                         // 00000000D4FC: D86C5540 69000015
	ds_read_b32 v106, v21 offset:23936                         // 00000000D504: D86C5D80 6A000015
	ds_read_b32 v107, v21 offset:24000                         // 00000000D50C: D86C5DC0 6B000015
	ds_read_b32 v108, v21 offset:26112                         // 00000000D514: D86C6600 6C000015
	ds_read_b32 v109, v21 offset:26176                         // 00000000D51C: D86C6640 6D000015
	ds_read_b32 v110, v21 offset:28288                         // 00000000D524: D86C6E80 6E000015
	ds_read_b32 v111, v21 offset:28352                         // 00000000D52C: D86C6EC0 6F000015
	ds_read_b32 v112, v21 offset:30464                         // 00000000D534: D86C7700 70000015
	ds_read_b32 v113, v21 offset:30528                         // 00000000D53C: D86C7740 71000015
	ds_read_b32 v114, v21 offset:32640                         // 00000000D544: D86C7F80 72000015
	ds_read_b32 v115, v21 offset:32704                         // 00000000D54C: D86C7FC0 73000015
	ds_read_b32 v116, v21 offset:34816                         // 00000000D554: D86C8800 74000015
	ds_read_b32 v117, v21 offset:34880                         // 00000000D55C: D86C8840 75000015
	ds_read_b32 v118, v21 offset:36992                         // 00000000D564: D86C9080 76000015
	ds_read_b32 v119, v21 offset:37056                         // 00000000D56C: D86C90C0 77000015
	s_waitcnt lgkmcnt(0)                                       // 00000000D574: BF8CC07F
	s_mov_b32 s36, -1                                          // 00000000D578: BEA400C1
	s_mov_b32 s37, -1                                          // 00000000D57C: BEA500C1
	v_mov_b32_e32 v7, 0                                        // 00000000D580: 7E0E0280
	s_or_b32 s9, s9, 0x40000                                   // 00000000D584: 8709FF09 00040000
	s_mov_b64 exec, s[36:37]                                   // 00000000D58C: BEFE0124
	v_mov_b32_e32 v6, v64                                      // 00000000D590: 7E0C0340
	s_mov_b64 s[60:61], 0                                      // 00000000D594: BEBC0180
	v_readlane_b32 s82, v3, 0                                  // 00000000D598: D2890052 00010103
	s_and_b32 s82, s82, 0xffffff                               // 00000000D5A0: 8652FF52 00FFFFFF
	s_cmp_lt_u32 s82, s66                                      // 00000000D5A8: BF0A4252
	s_cselect_b32 s20, s36, s60                                // 00000000D5AC: 85143C24
	v_readlane_b32 s82, v3, 1                                  // 00000000D5B0: D2890052 00010303
	s_and_b32 s82, s82, 0xffffff                               // 00000000D5B8: 8652FF52 00FFFFFF
	s_cmp_lt_u32 s82, s66                                      // 00000000D5C0: BF0A4252
	s_cselect_b32 s21, s36, s60                                // 00000000D5C4: 85153C24
	s_mov_b64 exec, s[20:21]                                   // 00000000D5C8: BEFE0114
	buffer_store_dword v84, v6, s[8:11], 0 offen               // 00000000D5CC: E0701000 80025406
	buffer_store_dword v86, v6, s[8:11], 0 offen offset:128    // 00000000D5D4: E0701080 80025606
	s_mov_b64 exec, s[36:37]                                   // 00000000D5DC: BEFE0124
	v_mov_b32_e32 v6, v65                                      // 00000000D5E0: 7E0C0341
	s_mov_b64 s[60:61], 0                                      // 00000000D5E4: BEBC0180
	v_readlane_b32 s82, v3, 2                                  // 00000000D5E8: D2890052 00010503
	s_and_b32 s82, s82, 0xffffff                               // 00000000D5F0: 8652FF52 00FFFFFF
	s_cmp_lt_u32 s82, s66                                      // 00000000D5F8: BF0A4252
	s_cselect_b32 s20, s36, s60                                // 00000000D5FC: 85143C24
	v_readlane_b32 s82, v3, 3                                  // 00000000D600: D2890052 00010703
	s_and_b32 s82, s82, 0xffffff                               // 00000000D608: 8652FF52 00FFFFFF
	s_cmp_lt_u32 s82, s66                                      // 00000000D610: BF0A4252
	s_cselect_b32 s21, s36, s60                                // 00000000D614: 85153C24
	s_mov_b64 exec, s[20:21]                                   // 00000000D618: BEFE0114
	buffer_store_dword v85, v6, s[8:11], 0 offen               // 00000000D61C: E0701000 80025506
	buffer_store_dword v87, v6, s[8:11], 0 offen offset:128    // 00000000D624: E0701080 80025706
	s_mov_b64 exec, s[36:37]                                   // 00000000D62C: BEFE0124
	v_mov_b32_e32 v6, v66                                      // 00000000D630: 7E0C0342
	s_mov_b64 s[60:61], 0                                      // 00000000D634: BEBC0180
	v_readlane_b32 s82, v3, 4                                  // 00000000D638: D2890052 00010903
	s_and_b32 s82, s82, 0xffffff                               // 00000000D640: 8652FF52 00FFFFFF
	s_cmp_lt_u32 s82, s66                                      // 00000000D648: BF0A4252
	s_cselect_b32 s20, s36, s60                                // 00000000D64C: 85143C24
	v_readlane_b32 s82, v3, 5                                  // 00000000D650: D2890052 00010B03
	s_and_b32 s82, s82, 0xffffff                               // 00000000D658: 8652FF52 00FFFFFF
	s_cmp_lt_u32 s82, s66                                      // 00000000D660: BF0A4252
	s_cselect_b32 s21, s36, s60                                // 00000000D664: 85153C24
	s_mov_b64 exec, s[20:21]                                   // 00000000D668: BEFE0114
	buffer_store_dword v88, v6, s[8:11], 0 offen               // 00000000D66C: E0701000 80025806
	buffer_store_dword v90, v6, s[8:11], 0 offen offset:128    // 00000000D674: E0701080 80025A06
	s_mov_b64 exec, s[36:37]                                   // 00000000D67C: BEFE0124
	v_mov_b32_e32 v6, v67                                      // 00000000D680: 7E0C0343
	s_mov_b64 s[60:61], 0                                      // 00000000D684: BEBC0180
	v_readlane_b32 s82, v3, 6                                  // 00000000D688: D2890052 00010D03
	s_and_b32 s82, s82, 0xffffff                               // 00000000D690: 8652FF52 00FFFFFF
	s_cmp_lt_u32 s82, s66                                      // 00000000D698: BF0A4252
	s_cselect_b32 s20, s36, s60                                // 00000000D69C: 85143C24
	v_readlane_b32 s82, v3, 7                                  // 00000000D6A0: D2890052 00010F03
	s_and_b32 s82, s82, 0xffffff                               // 00000000D6A8: 8652FF52 00FFFFFF
	s_cmp_lt_u32 s82, s66                                      // 00000000D6B0: BF0A4252
	s_cselect_b32 s21, s36, s60                                // 00000000D6B4: 85153C24
	s_mov_b64 exec, s[20:21]                                   // 00000000D6B8: BEFE0114
	buffer_store_dword v89, v6, s[8:11], 0 offen               // 00000000D6BC: E0701000 80025906
	buffer_store_dword v91, v6, s[8:11], 0 offen offset:128    // 00000000D6C4: E0701080 80025B06
	s_mov_b64 exec, s[36:37]                                   // 00000000D6CC: BEFE0124
	v_mov_b32_e32 v6, v68                                      // 00000000D6D0: 7E0C0344
	s_mov_b64 s[60:61], 0                                      // 00000000D6D4: BEBC0180
	v_readlane_b32 s82, v3, 8                                  // 00000000D6D8: D2890052 00011103
	s_and_b32 s82, s82, 0xffffff                               // 00000000D6E0: 8652FF52 00FFFFFF
	s_cmp_lt_u32 s82, s66                                      // 00000000D6E8: BF0A4252
	s_cselect_b32 s20, s36, s60                                // 00000000D6EC: 85143C24
	v_readlane_b32 s82, v3, 9                                  // 00000000D6F0: D2890052 00011303
	s_and_b32 s82, s82, 0xffffff                               // 00000000D6F8: 8652FF52 00FFFFFF
	s_cmp_lt_u32 s82, s66                                      // 00000000D700: BF0A4252
	s_cselect_b32 s21, s36, s60                                // 00000000D704: 85153C24
	s_mov_b64 exec, s[20:21]                                   // 00000000D708: BEFE0114
	buffer_store_dword v92, v6, s[8:11], 0 offen               // 00000000D70C: E0701000 80025C06
	buffer_store_dword v94, v6, s[8:11], 0 offen offset:128    // 00000000D714: E0701080 80025E06
	s_mov_b64 exec, s[36:37]                                   // 00000000D71C: BEFE0124
	v_mov_b32_e32 v6, v69                                      // 00000000D720: 7E0C0345
	s_mov_b64 s[60:61], 0                                      // 00000000D724: BEBC0180
	v_readlane_b32 s82, v3, 10                                 // 00000000D728: D2890052 00011503
	s_and_b32 s82, s82, 0xffffff                               // 00000000D730: 8652FF52 00FFFFFF
	s_cmp_lt_u32 s82, s66                                      // 00000000D738: BF0A4252
	s_cselect_b32 s20, s36, s60                                // 00000000D73C: 85143C24
	v_readlane_b32 s82, v3, 11                                 // 00000000D740: D2890052 00011703
	s_and_b32 s82, s82, 0xffffff                               // 00000000D748: 8652FF52 00FFFFFF
	s_cmp_lt_u32 s82, s66                                      // 00000000D750: BF0A4252
	s_cselect_b32 s21, s36, s60                                // 00000000D754: 85153C24
	s_mov_b64 exec, s[20:21]                                   // 00000000D758: BEFE0114
	buffer_store_dword v93, v6, s[8:11], 0 offen               // 00000000D75C: E0701000 80025D06
	buffer_store_dword v95, v6, s[8:11], 0 offen offset:128    // 00000000D764: E0701080 80025F06
	s_mov_b64 exec, s[36:37]                                   // 00000000D76C: BEFE0124
	v_mov_b32_e32 v6, v70                                      // 00000000D770: 7E0C0346
	s_mov_b64 s[60:61], 0                                      // 00000000D774: BEBC0180
	v_readlane_b32 s82, v3, 12                                 // 00000000D778: D2890052 00011903
	s_and_b32 s82, s82, 0xffffff                               // 00000000D780: 8652FF52 00FFFFFF
	s_cmp_lt_u32 s82, s66                                      // 00000000D788: BF0A4252
	s_cselect_b32 s20, s36, s60                                // 00000000D78C: 85143C24
	v_readlane_b32 s82, v3, 13                                 // 00000000D790: D2890052 00011B03
	s_and_b32 s82, s82, 0xffffff                               // 00000000D798: 8652FF52 00FFFFFF
	s_cmp_lt_u32 s82, s66                                      // 00000000D7A0: BF0A4252
	s_cselect_b32 s21, s36, s60                                // 00000000D7A4: 85153C24
	s_mov_b64 exec, s[20:21]                                   // 00000000D7A8: BEFE0114
	buffer_store_dword v96, v6, s[8:11], 0 offen               // 00000000D7AC: E0701000 80026006
	buffer_store_dword v98, v6, s[8:11], 0 offen offset:128    // 00000000D7B4: E0701080 80026206
	s_mov_b64 exec, s[36:37]                                   // 00000000D7BC: BEFE0124
	v_mov_b32_e32 v6, v71                                      // 00000000D7C0: 7E0C0347
	s_mov_b64 s[60:61], 0                                      // 00000000D7C4: BEBC0180
	v_readlane_b32 s82, v3, 14                                 // 00000000D7C8: D2890052 00011D03
	s_and_b32 s82, s82, 0xffffff                               // 00000000D7D0: 8652FF52 00FFFFFF
	s_cmp_lt_u32 s82, s66                                      // 00000000D7D8: BF0A4252
	s_cselect_b32 s20, s36, s60                                // 00000000D7DC: 85143C24
	v_readlane_b32 s82, v3, 15                                 // 00000000D7E0: D2890052 00011F03
	s_and_b32 s82, s82, 0xffffff                               // 00000000D7E8: 8652FF52 00FFFFFF
	s_cmp_lt_u32 s82, s66                                      // 00000000D7F0: BF0A4252
	s_cselect_b32 s21, s36, s60                                // 00000000D7F4: 85153C24
	s_mov_b64 exec, s[20:21]                                   // 00000000D7F8: BEFE0114
	buffer_store_dword v97, v6, s[8:11], 0 offen               // 00000000D7FC: E0701000 80026106
	buffer_store_dword v99, v6, s[8:11], 0 offen offset:128    // 00000000D804: E0701080 80026306
	s_mov_b64 exec, s[36:37]                                   // 00000000D80C: BEFE0124
	v_mov_b32_e32 v6, v72                                      // 00000000D810: 7E0C0348
	s_mov_b64 s[60:61], 0                                      // 00000000D814: BEBC0180
	v_readlane_b32 s82, v3, 16                                 // 00000000D818: D2890052 00012103
	s_and_b32 s82, s82, 0xffffff                               // 00000000D820: 8652FF52 00FFFFFF
	s_cmp_lt_u32 s82, s66                                      // 00000000D828: BF0A4252
	s_cselect_b32 s20, s36, s60                                // 00000000D82C: 85143C24
	v_readlane_b32 s82, v3, 17                                 // 00000000D830: D2890052 00012303
	s_and_b32 s82, s82, 0xffffff                               // 00000000D838: 8652FF52 00FFFFFF
	s_cmp_lt_u32 s82, s66                                      // 00000000D840: BF0A4252
	s_cselect_b32 s21, s36, s60                                // 00000000D844: 85153C24
	s_mov_b64 exec, s[20:21]                                   // 00000000D848: BEFE0114
	buffer_store_dword v100, v6, s[8:11], 0 offen              // 00000000D84C: E0701000 80026406
	buffer_store_dword v102, v6, s[8:11], 0 offen offset:128   // 00000000D854: E0701080 80026606
	s_mov_b64 exec, s[36:37]                                   // 00000000D85C: BEFE0124
	v_mov_b32_e32 v6, v73                                      // 00000000D860: 7E0C0349
	s_mov_b64 s[60:61], 0                                      // 00000000D864: BEBC0180
	v_readlane_b32 s82, v3, 18                                 // 00000000D868: D2890052 00012503
	s_and_b32 s82, s82, 0xffffff                               // 00000000D870: 8652FF52 00FFFFFF
	s_cmp_lt_u32 s82, s66                                      // 00000000D878: BF0A4252
	s_cselect_b32 s20, s36, s60                                // 00000000D87C: 85143C24
	v_readlane_b32 s82, v3, 19                                 // 00000000D880: D2890052 00012703
	s_and_b32 s82, s82, 0xffffff                               // 00000000D888: 8652FF52 00FFFFFF
	s_cmp_lt_u32 s82, s66                                      // 00000000D890: BF0A4252
	s_cselect_b32 s21, s36, s60                                // 00000000D894: 85153C24
	s_mov_b64 exec, s[20:21]                                   // 00000000D898: BEFE0114
	buffer_store_dword v101, v6, s[8:11], 0 offen              // 00000000D89C: E0701000 80026506
	buffer_store_dword v103, v6, s[8:11], 0 offen offset:128   // 00000000D8A4: E0701080 80026706
	s_mov_b64 exec, s[36:37]                                   // 00000000D8AC: BEFE0124
	v_mov_b32_e32 v6, v74                                      // 00000000D8B0: 7E0C034A
	s_mov_b64 s[60:61], 0                                      // 00000000D8B4: BEBC0180
	v_readlane_b32 s82, v3, 20                                 // 00000000D8B8: D2890052 00012903
	s_and_b32 s82, s82, 0xffffff                               // 00000000D8C0: 8652FF52 00FFFFFF
	s_cmp_lt_u32 s82, s66                                      // 00000000D8C8: BF0A4252
	s_cselect_b32 s20, s36, s60                                // 00000000D8CC: 85143C24
	v_readlane_b32 s82, v3, 21                                 // 00000000D8D0: D2890052 00012B03
	s_and_b32 s82, s82, 0xffffff                               // 00000000D8D8: 8652FF52 00FFFFFF
	s_cmp_lt_u32 s82, s66                                      // 00000000D8E0: BF0A4252
	s_cselect_b32 s21, s36, s60                                // 00000000D8E4: 85153C24
	s_mov_b64 exec, s[20:21]                                   // 00000000D8E8: BEFE0114
	buffer_store_dword v104, v6, s[8:11], 0 offen              // 00000000D8EC: E0701000 80026806
	buffer_store_dword v106, v6, s[8:11], 0 offen offset:128   // 00000000D8F4: E0701080 80026A06
	s_mov_b64 exec, s[36:37]                                   // 00000000D8FC: BEFE0124
	v_mov_b32_e32 v6, v75                                      // 00000000D900: 7E0C034B
	s_mov_b64 s[60:61], 0                                      // 00000000D904: BEBC0180
	v_readlane_b32 s82, v3, 22                                 // 00000000D908: D2890052 00012D03
	s_and_b32 s82, s82, 0xffffff                               // 00000000D910: 8652FF52 00FFFFFF
	s_cmp_lt_u32 s82, s66                                      // 00000000D918: BF0A4252
	s_cselect_b32 s20, s36, s60                                // 00000000D91C: 85143C24
	v_readlane_b32 s82, v3, 23                                 // 00000000D920: D2890052 00012F03
	s_and_b32 s82, s82, 0xffffff                               // 00000000D928: 8652FF52 00FFFFFF
	s_cmp_lt_u32 s82, s66                                      // 00000000D930: BF0A4252
	s_cselect_b32 s21, s36, s60                                // 00000000D934: 85153C24
	s_mov_b64 exec, s[20:21]                                   // 00000000D938: BEFE0114
	buffer_store_dword v105, v6, s[8:11], 0 offen              // 00000000D93C: E0701000 80026906
	buffer_store_dword v107, v6, s[8:11], 0 offen offset:128   // 00000000D944: E0701080 80026B06
	s_mov_b64 exec, s[36:37]                                   // 00000000D94C: BEFE0124
	v_mov_b32_e32 v6, v76                                      // 00000000D950: 7E0C034C
	s_mov_b64 s[60:61], 0                                      // 00000000D954: BEBC0180
	v_readlane_b32 s82, v3, 24                                 // 00000000D958: D2890052 00013103
	s_and_b32 s82, s82, 0xffffff                               // 00000000D960: 8652FF52 00FFFFFF
	s_cmp_lt_u32 s82, s66                                      // 00000000D968: BF0A4252
	s_cselect_b32 s20, s36, s60                                // 00000000D96C: 85143C24
	v_readlane_b32 s82, v3, 25                                 // 00000000D970: D2890052 00013303
	s_and_b32 s82, s82, 0xffffff                               // 00000000D978: 8652FF52 00FFFFFF
	s_cmp_lt_u32 s82, s66                                      // 00000000D980: BF0A4252
	s_cselect_b32 s21, s36, s60                                // 00000000D984: 85153C24
	s_mov_b64 exec, s[20:21]                                   // 00000000D988: BEFE0114
	buffer_store_dword v108, v6, s[8:11], 0 offen              // 00000000D98C: E0701000 80026C06
	buffer_store_dword v110, v6, s[8:11], 0 offen offset:128   // 00000000D994: E0701080 80026E06
	s_mov_b64 exec, s[36:37]                                   // 00000000D99C: BEFE0124
	v_mov_b32_e32 v6, v77                                      // 00000000D9A0: 7E0C034D
	s_mov_b64 s[60:61], 0                                      // 00000000D9A4: BEBC0180
	v_readlane_b32 s82, v3, 26                                 // 00000000D9A8: D2890052 00013503
	s_and_b32 s82, s82, 0xffffff                               // 00000000D9B0: 8652FF52 00FFFFFF
	s_cmp_lt_u32 s82, s66                                      // 00000000D9B8: BF0A4252
	s_cselect_b32 s20, s36, s60                                // 00000000D9BC: 85143C24
	v_readlane_b32 s82, v3, 27                                 // 00000000D9C0: D2890052 00013703
	s_and_b32 s82, s82, 0xffffff                               // 00000000D9C8: 8652FF52 00FFFFFF
	s_cmp_lt_u32 s82, s66                                      // 00000000D9D0: BF0A4252
	s_cselect_b32 s21, s36, s60                                // 00000000D9D4: 85153C24
	s_mov_b64 exec, s[20:21]                                   // 00000000D9D8: BEFE0114
	buffer_store_dword v109, v6, s[8:11], 0 offen              // 00000000D9DC: E0701000 80026D06
	buffer_store_dword v111, v6, s[8:11], 0 offen offset:128   // 00000000D9E4: E0701080 80026F06
	s_mov_b64 exec, s[36:37]                                   // 00000000D9EC: BEFE0124
	v_mov_b32_e32 v6, v78                                      // 00000000D9F0: 7E0C034E
	s_mov_b64 s[60:61], 0                                      // 00000000D9F4: BEBC0180
	v_readlane_b32 s82, v3, 28                                 // 00000000D9F8: D2890052 00013903
	s_and_b32 s82, s82, 0xffffff                               // 00000000DA00: 8652FF52 00FFFFFF
	s_cmp_lt_u32 s82, s66                                      // 00000000DA08: BF0A4252
	s_cselect_b32 s20, s36, s60                                // 00000000DA0C: 85143C24
	v_readlane_b32 s82, v3, 29                                 // 00000000DA10: D2890052 00013B03
	s_and_b32 s82, s82, 0xffffff                               // 00000000DA18: 8652FF52 00FFFFFF
	s_cmp_lt_u32 s82, s66                                      // 00000000DA20: BF0A4252
	s_cselect_b32 s21, s36, s60                                // 00000000DA24: 85153C24
	s_mov_b64 exec, s[20:21]                                   // 00000000DA28: BEFE0114
	buffer_store_dword v112, v6, s[8:11], 0 offen              // 00000000DA2C: E0701000 80027006
	buffer_store_dword v114, v6, s[8:11], 0 offen offset:128   // 00000000DA34: E0701080 80027206
	s_mov_b64 exec, s[36:37]                                   // 00000000DA3C: BEFE0124
	v_mov_b32_e32 v6, v79                                      // 00000000DA40: 7E0C034F
	s_mov_b64 s[60:61], 0                                      // 00000000DA44: BEBC0180
	v_readlane_b32 s82, v3, 30                                 // 00000000DA48: D2890052 00013D03
	s_and_b32 s82, s82, 0xffffff                               // 00000000DA50: 8652FF52 00FFFFFF
	s_cmp_lt_u32 s82, s66                                      // 00000000DA58: BF0A4252
	s_cselect_b32 s20, s36, s60                                // 00000000DA5C: 85143C24
	v_readlane_b32 s82, v3, 31                                 // 00000000DA60: D2890052 00013F03
	s_and_b32 s82, s82, 0xffffff                               // 00000000DA68: 8652FF52 00FFFFFF
	s_cmp_lt_u32 s82, s66                                      // 00000000DA70: BF0A4252
	s_cselect_b32 s21, s36, s60                                // 00000000DA74: 85153C24
	s_mov_b64 exec, s[20:21]                                   // 00000000DA78: BEFE0114
	buffer_store_dword v113, v6, s[8:11], 0 offen              // 00000000DA7C: E0701000 80027106
	buffer_store_dword v115, v6, s[8:11], 0 offen offset:128   // 00000000DA84: E0701080 80027306
	s_mov_b64 exec, s[36:37]                                   // 00000000DA8C: BEFE0124
	v_mov_b32_e32 v6, v80                                      // 00000000DA90: 7E0C0350
	s_mov_b64 s[60:61], 0                                      // 00000000DA94: BEBC0180
	v_readlane_b32 s82, v3, 32                                 // 00000000DA98: D2890052 00014103
	s_and_b32 s82, s82, 0xffffff                               // 00000000DAA0: 8652FF52 00FFFFFF
	s_cmp_lt_u32 s82, s66                                      // 00000000DAA8: BF0A4252
	s_cselect_b32 s20, s36, s60                                // 00000000DAAC: 85143C24
	v_readlane_b32 s82, v3, 33                                 // 00000000DAB0: D2890052 00014303
	s_and_b32 s82, s82, 0xffffff                               // 00000000DAB8: 8652FF52 00FFFFFF
	s_cmp_lt_u32 s82, s66                                      // 00000000DAC0: BF0A4252
	s_cselect_b32 s21, s36, s60                                // 00000000DAC4: 85153C24
	s_mov_b64 exec, s[20:21]                                   // 00000000DAC8: BEFE0114
	buffer_store_dword v116, v6, s[8:11], 0 offen              // 00000000DACC: E0701000 80027406
	buffer_store_dword v118, v6, s[8:11], 0 offen offset:128   // 00000000DAD4: E0701080 80027606
	s_mov_b64 exec, s[36:37]                                   // 00000000DADC: BEFE0124
	v_mov_b32_e32 v6, v81                                      // 00000000DAE0: 7E0C0351
	s_mov_b64 s[60:61], 0                                      // 00000000DAE4: BEBC0180
	v_readlane_b32 s82, v3, 34                                 // 00000000DAE8: D2890052 00014503
	s_and_b32 s82, s82, 0xffffff                               // 00000000DAF0: 8652FF52 00FFFFFF
	s_cmp_lt_u32 s82, s66                                      // 00000000DAF8: BF0A4252
	s_cselect_b32 s20, s36, s60                                // 00000000DAFC: 85143C24
	v_readlane_b32 s82, v3, 35                                 // 00000000DB00: D2890052 00014703
	s_and_b32 s82, s82, 0xffffff                               // 00000000DB08: 8652FF52 00FFFFFF
	s_cmp_lt_u32 s82, s66                                      // 00000000DB10: BF0A4252
	s_cselect_b32 s21, s36, s60                                // 00000000DB14: 85153C24
	s_mov_b64 exec, s[20:21]                                   // 00000000DB18: BEFE0114
	buffer_store_dword v117, v6, s[8:11], 0 offen              // 00000000DB1C: E0701000 80027506
	buffer_store_dword v119, v6, s[8:11], 0 offen offset:128   // 00000000DB24: E0701080 80027706
	s_mov_b64 exec, s[36:37]                                   // 00000000DB2C: BEFE0124
	s_branch label_3556                                        // 00000000DB30: BF820906

000000000000db34 <label_2C50>:
	ds_write_b64 v20, v[84:85]                                 // 00000000DB34: D89A0000 00005414
	ds_write_b64 v20, v[88:89] offset:4352                     // 00000000DB3C: D89A1100 00005814
	ds_write_b64 v20, v[92:93] offset:8704                     // 00000000DB44: D89A2200 00005C14
	ds_write_b64 v20, v[96:97] offset:13056                    // 00000000DB4C: D89A3300 00006014
	ds_write_b64 v20, v[100:101] offset:17408                  // 00000000DB54: D89A4400 00006414
	ds_write_b64 v20, v[104:105] offset:21760                  // 00000000DB5C: D89A5500 00006814
	ds_write_b64 v20, v[108:109] offset:26112                  // 00000000DB64: D89A6600 00006C14
	ds_write_b64 v20, v[112:113] offset:30464                  // 00000000DB6C: D89A7700 00007014
	ds_write_b64 v20, v[116:117] offset:34816                  // 00000000DB74: D89A8800 00007414
	ds_write_b64 v20, v[120:121] offset:2176                   // 00000000DB7C: D89A0880 00007814
	ds_write_b64 v20, v[124:125] offset:6528                   // 00000000DB84: D89A1980 00007C14
	ds_write_b64 v20, v[128:129] offset:10880                  // 00000000DB8C: D89A2A80 00008014
	ds_write_b64 v20, v[132:133] offset:15232                  // 00000000DB94: D89A3B80 00008414
	ds_write_b64 v20, v[136:137] offset:19584                  // 00000000DB9C: D89A4C80 00008814
	ds_write_b64 v20, v[140:141] offset:23936                  // 00000000DBA4: D89A5D80 00008C14
	ds_write_b64 v20, v[144:145] offset:28288                  // 00000000DBAC: D89A6E80 00009014
	ds_write_b64 v20, v[148:149] offset:32640                  // 00000000DBB4: D89A7F80 00009414
	ds_write_b64 v20, v[152:153] offset:36992                  // 00000000DBBC: D89A9080 00009814
	v_lshrrev_b32_e32 v4, 5, v0                                // 00000000DBC4: 20080085
	v_xor_b32_e32 v5, 1, v4                                    // 00000000DBC8: 2A0A0881
	s_mul_i32 s60, s65, 2                                      // 00000000DBCC: 923C8241
	s_cmp_eq_u32 s88, 0                                        // 00000000DBD0: BF068058
	s_cselect_b32 s61, 1, 4                                    // 00000000DBD4: 853D8481
	s_mul_i32 s60, s61, s60                                    // 00000000DBD8: 923C3C3D
	v_readlane_b32 s82, v3, 0                                  // 00000000DBDC: D2890052 00010103
	s_lshr_b32 s61, s82, 24                                    // 00000000DBE4: 8F3D9852
	s_and_b32 s82, s82, 0xffffff                               // 00000000DBE8: 8652FF52 00FFFFFF
	s_mul_i32 s82, s82, s71                                    // 00000000DBF0: 92524752
	s_mul_i32 s61, s60, s61                                    // 00000000DBF4: 923D3D3C
	s_add_u32 s82, s82, s61                                    // 00000000DBF8: 80523D52
	v_mul_lo_u32 v6, v5, s82                                   // 00000000DBFC: D2850006 0000A505
	v_readlane_b32 s82, v3, 1                                  // 00000000DC04: D2890052 00010303
	s_lshr_b32 s61, s82, 24                                    // 00000000DC0C: 8F3D9852
	s_and_b32 s82, s82, 0xffffff                               // 00000000DC10: 8652FF52 00FFFFFF
	s_mul_i32 s82, s82, s71                                    // 00000000DC18: 92524752
	s_mul_i32 s61, s60, s61                                    // 00000000DC1C: 923D3D3C
	s_add_u32 s82, s82, s61                                    // 00000000DC20: 80523D52
	v_mul_lo_u32 v7, v4, s82                                   // 00000000DC24: D2850007 0000A504
	v_add_u32_e32 v64, v6, v7                                  // 00000000DC2C: 68800F06
	v_readlane_b32 s82, v3, 2                                  // 00000000DC30: D2890052 00010503
	s_lshr_b32 s61, s82, 24                                    // 00000000DC38: 8F3D9852
	s_and_b32 s82, s82, 0xffffff                               // 00000000DC3C: 8652FF52 00FFFFFF
	s_mul_i32 s82, s82, s71                                    // 00000000DC44: 92524752
	s_mul_i32 s61, s60, s61                                    // 00000000DC48: 923D3D3C
	s_add_u32 s82, s82, s61                                    // 00000000DC4C: 80523D52
	v_mul_lo_u32 v6, v5, s82                                   // 00000000DC50: D2850006 0000A505
	v_readlane_b32 s82, v3, 3                                  // 00000000DC58: D2890052 00010703
	s_lshr_b32 s61, s82, 24                                    // 00000000DC60: 8F3D9852
	s_and_b32 s82, s82, 0xffffff                               // 00000000DC64: 8652FF52 00FFFFFF
	s_mul_i32 s82, s82, s71                                    // 00000000DC6C: 92524752
	s_mul_i32 s61, s60, s61                                    // 00000000DC70: 923D3D3C
	s_add_u32 s82, s82, s61                                    // 00000000DC74: 80523D52
	v_mul_lo_u32 v7, v4, s82                                   // 00000000DC78: D2850007 0000A504
	v_add_u32_e32 v65, v6, v7                                  // 00000000DC80: 68820F06
	v_readlane_b32 s82, v3, 4                                  // 00000000DC84: D2890052 00010903
	s_lshr_b32 s61, s82, 24                                    // 00000000DC8C: 8F3D9852
	s_and_b32 s82, s82, 0xffffff                               // 00000000DC90: 8652FF52 00FFFFFF
	s_mul_i32 s82, s82, s71                                    // 00000000DC98: 92524752
	s_mul_i32 s61, s60, s61                                    // 00000000DC9C: 923D3D3C
	s_add_u32 s82, s82, s61                                    // 00000000DCA0: 80523D52
	v_mul_lo_u32 v6, v5, s82                                   // 00000000DCA4: D2850006 0000A505
	v_readlane_b32 s82, v3, 5                                  // 00000000DCAC: D2890052 00010B03
	s_lshr_b32 s61, s82, 24                                    // 00000000DCB4: 8F3D9852
	s_and_b32 s82, s82, 0xffffff                               // 00000000DCB8: 8652FF52 00FFFFFF
	s_mul_i32 s82, s82, s71                                    // 00000000DCC0: 92524752
	s_mul_i32 s61, s60, s61                                    // 00000000DCC4: 923D3D3C
	s_add_u32 s82, s82, s61                                    // 00000000DCC8: 80523D52
	v_mul_lo_u32 v7, v4, s82                                   // 00000000DCCC: D2850007 0000A504
	v_add_u32_e32 v66, v6, v7                                  // 00000000DCD4: 68840F06
	v_readlane_b32 s82, v3, 6                                  // 00000000DCD8: D2890052 00010D03
	s_lshr_b32 s61, s82, 24                                    // 00000000DCE0: 8F3D9852
	s_and_b32 s82, s82, 0xffffff                               // 00000000DCE4: 8652FF52 00FFFFFF
	s_mul_i32 s82, s82, s71                                    // 00000000DCEC: 92524752
	s_mul_i32 s61, s60, s61                                    // 00000000DCF0: 923D3D3C
	s_add_u32 s82, s82, s61                                    // 00000000DCF4: 80523D52
	v_mul_lo_u32 v6, v5, s82                                   // 00000000DCF8: D2850006 0000A505
	v_readlane_b32 s82, v3, 7                                  // 00000000DD00: D2890052 00010F03
	s_lshr_b32 s61, s82, 24                                    // 00000000DD08: 8F3D9852
	s_and_b32 s82, s82, 0xffffff                               // 00000000DD0C: 8652FF52 00FFFFFF
	s_mul_i32 s82, s82, s71                                    // 00000000DD14: 92524752
	s_mul_i32 s61, s60, s61                                    // 00000000DD18: 923D3D3C
	s_add_u32 s82, s82, s61                                    // 00000000DD1C: 80523D52
	v_mul_lo_u32 v7, v4, s82                                   // 00000000DD20: D2850007 0000A504
	v_add_u32_e32 v67, v6, v7                                  // 00000000DD28: 68860F06
	v_readlane_b32 s82, v3, 8                                  // 00000000DD2C: D2890052 00011103
	s_lshr_b32 s61, s82, 24                                    // 00000000DD34: 8F3D9852
	s_and_b32 s82, s82, 0xffffff                               // 00000000DD38: 8652FF52 00FFFFFF
	s_mul_i32 s82, s82, s71                                    // 00000000DD40: 92524752
	s_mul_i32 s61, s60, s61                                    // 00000000DD44: 923D3D3C
	s_add_u32 s82, s82, s61                                    // 00000000DD48: 80523D52
	v_mul_lo_u32 v6, v5, s82                                   // 00000000DD4C: D2850006 0000A505
	v_readlane_b32 s82, v3, 9                                  // 00000000DD54: D2890052 00011303
	s_lshr_b32 s61, s82, 24                                    // 00000000DD5C: 8F3D9852
	s_and_b32 s82, s82, 0xffffff                               // 00000000DD60: 8652FF52 00FFFFFF
	s_mul_i32 s82, s82, s71                                    // 00000000DD68: 92524752
	s_mul_i32 s61, s60, s61                                    // 00000000DD6C: 923D3D3C
	s_add_u32 s82, s82, s61                                    // 00000000DD70: 80523D52
	v_mul_lo_u32 v7, v4, s82                                   // 00000000DD74: D2850007 0000A504
	v_add_u32_e32 v68, v6, v7                                  // 00000000DD7C: 68880F06
	v_readlane_b32 s82, v3, 10                                 // 00000000DD80: D2890052 00011503
	s_lshr_b32 s61, s82, 24                                    // 00000000DD88: 8F3D9852
	s_and_b32 s82, s82, 0xffffff                               // 00000000DD8C: 8652FF52 00FFFFFF
	s_mul_i32 s82, s82, s71                                    // 00000000DD94: 92524752
	s_mul_i32 s61, s60, s61                                    // 00000000DD98: 923D3D3C
	s_add_u32 s82, s82, s61                                    // 00000000DD9C: 80523D52
	v_mul_lo_u32 v6, v5, s82                                   // 00000000DDA0: D2850006 0000A505
	v_readlane_b32 s82, v3, 11                                 // 00000000DDA8: D2890052 00011703
	s_lshr_b32 s61, s82, 24                                    // 00000000DDB0: 8F3D9852
	s_and_b32 s82, s82, 0xffffff                               // 00000000DDB4: 8652FF52 00FFFFFF
	s_mul_i32 s82, s82, s71                                    // 00000000DDBC: 92524752
	s_mul_i32 s61, s60, s61                                    // 00000000DDC0: 923D3D3C
	s_add_u32 s82, s82, s61                                    // 00000000DDC4: 80523D52
	v_mul_lo_u32 v7, v4, s82                                   // 00000000DDC8: D2850007 0000A504
	v_add_u32_e32 v69, v6, v7                                  // 00000000DDD0: 688A0F06
	v_readlane_b32 s82, v3, 12                                 // 00000000DDD4: D2890052 00011903
	s_lshr_b32 s61, s82, 24                                    // 00000000DDDC: 8F3D9852
	s_and_b32 s82, s82, 0xffffff                               // 00000000DDE0: 8652FF52 00FFFFFF
	s_mul_i32 s82, s82, s71                                    // 00000000DDE8: 92524752
	s_mul_i32 s61, s60, s61                                    // 00000000DDEC: 923D3D3C
	s_add_u32 s82, s82, s61                                    // 00000000DDF0: 80523D52
	v_mul_lo_u32 v6, v5, s82                                   // 00000000DDF4: D2850006 0000A505
	v_readlane_b32 s82, v3, 13                                 // 00000000DDFC: D2890052 00011B03
	s_lshr_b32 s61, s82, 24                                    // 00000000DE04: 8F3D9852
	s_and_b32 s82, s82, 0xffffff                               // 00000000DE08: 8652FF52 00FFFFFF
	s_mul_i32 s82, s82, s71                                    // 00000000DE10: 92524752
	s_mul_i32 s61, s60, s61                                    // 00000000DE14: 923D3D3C
	s_add_u32 s82, s82, s61                                    // 00000000DE18: 80523D52
	v_mul_lo_u32 v7, v4, s82                                   // 00000000DE1C: D2850007 0000A504
	v_add_u32_e32 v70, v6, v7                                  // 00000000DE24: 688C0F06
	v_readlane_b32 s82, v3, 14                                 // 00000000DE28: D2890052 00011D03
	s_lshr_b32 s61, s82, 24                                    // 00000000DE30: 8F3D9852
	s_and_b32 s82, s82, 0xffffff                               // 00000000DE34: 8652FF52 00FFFFFF
	s_mul_i32 s82, s82, s71                                    // 00000000DE3C: 92524752
	s_mul_i32 s61, s60, s61                                    // 00000000DE40: 923D3D3C
	s_add_u32 s82, s82, s61                                    // 00000000DE44: 80523D52
	v_mul_lo_u32 v6, v5, s82                                   // 00000000DE48: D2850006 0000A505
	v_readlane_b32 s82, v3, 15                                 // 00000000DE50: D2890052 00011F03
	s_lshr_b32 s61, s82, 24                                    // 00000000DE58: 8F3D9852
	s_and_b32 s82, s82, 0xffffff                               // 00000000DE5C: 8652FF52 00FFFFFF
	s_mul_i32 s82, s82, s71                                    // 00000000DE64: 92524752
	s_mul_i32 s61, s60, s61                                    // 00000000DE68: 923D3D3C
	s_add_u32 s82, s82, s61                                    // 00000000DE6C: 80523D52
	v_mul_lo_u32 v7, v4, s82                                   // 00000000DE70: D2850007 0000A504
	v_add_u32_e32 v71, v6, v7                                  // 00000000DE78: 688E0F06
	v_readlane_b32 s82, v3, 16                                 // 00000000DE7C: D2890052 00012103
	s_lshr_b32 s61, s82, 24                                    // 00000000DE84: 8F3D9852
	s_and_b32 s82, s82, 0xffffff                               // 00000000DE88: 8652FF52 00FFFFFF
	s_mul_i32 s82, s82, s71                                    // 00000000DE90: 92524752
	s_mul_i32 s61, s60, s61                                    // 00000000DE94: 923D3D3C
	s_add_u32 s82, s82, s61                                    // 00000000DE98: 80523D52
	v_mul_lo_u32 v6, v5, s82                                   // 00000000DE9C: D2850006 0000A505
	v_readlane_b32 s82, v3, 17                                 // 00000000DEA4: D2890052 00012303
	s_lshr_b32 s61, s82, 24                                    // 00000000DEAC: 8F3D9852
	s_and_b32 s82, s82, 0xffffff                               // 00000000DEB0: 8652FF52 00FFFFFF
	s_mul_i32 s82, s82, s71                                    // 00000000DEB8: 92524752
	s_mul_i32 s61, s60, s61                                    // 00000000DEBC: 923D3D3C
	s_add_u32 s82, s82, s61                                    // 00000000DEC0: 80523D52
	v_mul_lo_u32 v7, v4, s82                                   // 00000000DEC4: D2850007 0000A504
	v_add_u32_e32 v72, v6, v7                                  // 00000000DECC: 68900F06
	v_readlane_b32 s82, v3, 18                                 // 00000000DED0: D2890052 00012503
	s_lshr_b32 s61, s82, 24                                    // 00000000DED8: 8F3D9852
	s_and_b32 s82, s82, 0xffffff                               // 00000000DEDC: 8652FF52 00FFFFFF
	s_mul_i32 s82, s82, s71                                    // 00000000DEE4: 92524752
	s_mul_i32 s61, s60, s61                                    // 00000000DEE8: 923D3D3C
	s_add_u32 s82, s82, s61                                    // 00000000DEEC: 80523D52
	v_mul_lo_u32 v6, v5, s82                                   // 00000000DEF0: D2850006 0000A505
	v_readlane_b32 s82, v3, 19                                 // 00000000DEF8: D2890052 00012703
	s_lshr_b32 s61, s82, 24                                    // 00000000DF00: 8F3D9852
	s_and_b32 s82, s82, 0xffffff                               // 00000000DF04: 8652FF52 00FFFFFF
	s_mul_i32 s82, s82, s71                                    // 00000000DF0C: 92524752
	s_mul_i32 s61, s60, s61                                    // 00000000DF10: 923D3D3C
	s_add_u32 s82, s82, s61                                    // 00000000DF14: 80523D52
	v_mul_lo_u32 v7, v4, s82                                   // 00000000DF18: D2850007 0000A504
	v_add_u32_e32 v73, v6, v7                                  // 00000000DF20: 68920F06
	v_readlane_b32 s82, v3, 20                                 // 00000000DF24: D2890052 00012903
	s_lshr_b32 s61, s82, 24                                    // 00000000DF2C: 8F3D9852
	s_and_b32 s82, s82, 0xffffff                               // 00000000DF30: 8652FF52 00FFFFFF
	s_mul_i32 s82, s82, s71                                    // 00000000DF38: 92524752
	s_mul_i32 s61, s60, s61                                    // 00000000DF3C: 923D3D3C
	s_add_u32 s82, s82, s61                                    // 00000000DF40: 80523D52
	v_mul_lo_u32 v6, v5, s82                                   // 00000000DF44: D2850006 0000A505
	v_readlane_b32 s82, v3, 21                                 // 00000000DF4C: D2890052 00012B03
	s_lshr_b32 s61, s82, 24                                    // 00000000DF54: 8F3D9852
	s_and_b32 s82, s82, 0xffffff                               // 00000000DF58: 8652FF52 00FFFFFF
	s_mul_i32 s82, s82, s71                                    // 00000000DF60: 92524752
	s_mul_i32 s61, s60, s61                                    // 00000000DF64: 923D3D3C
	s_add_u32 s82, s82, s61                                    // 00000000DF68: 80523D52
	v_mul_lo_u32 v7, v4, s82                                   // 00000000DF6C: D2850007 0000A504
	v_add_u32_e32 v74, v6, v7                                  // 00000000DF74: 68940F06
	v_readlane_b32 s82, v3, 22                                 // 00000000DF78: D2890052 00012D03
	s_lshr_b32 s61, s82, 24                                    // 00000000DF80: 8F3D9852
	s_and_b32 s82, s82, 0xffffff                               // 00000000DF84: 8652FF52 00FFFFFF
	s_mul_i32 s82, s82, s71                                    // 00000000DF8C: 92524752
	s_mul_i32 s61, s60, s61                                    // 00000000DF90: 923D3D3C
	s_add_u32 s82, s82, s61                                    // 00000000DF94: 80523D52
	v_mul_lo_u32 v6, v5, s82                                   // 00000000DF98: D2850006 0000A505
	v_readlane_b32 s82, v3, 23                                 // 00000000DFA0: D2890052 00012F03
	s_lshr_b32 s61, s82, 24                                    // 00000000DFA8: 8F3D9852
	s_and_b32 s82, s82, 0xffffff                               // 00000000DFAC: 8652FF52 00FFFFFF
	s_mul_i32 s82, s82, s71                                    // 00000000DFB4: 92524752
	s_mul_i32 s61, s60, s61                                    // 00000000DFB8: 923D3D3C
	s_add_u32 s82, s82, s61                                    // 00000000DFBC: 80523D52
	v_mul_lo_u32 v7, v4, s82                                   // 00000000DFC0: D2850007 0000A504
	v_add_u32_e32 v75, v6, v7                                  // 00000000DFC8: 68960F06
	v_readlane_b32 s82, v3, 24                                 // 00000000DFCC: D2890052 00013103
	s_lshr_b32 s61, s82, 24                                    // 00000000DFD4: 8F3D9852
	s_and_b32 s82, s82, 0xffffff                               // 00000000DFD8: 8652FF52 00FFFFFF
	s_mul_i32 s82, s82, s71                                    // 00000000DFE0: 92524752
	s_mul_i32 s61, s60, s61                                    // 00000000DFE4: 923D3D3C
	s_add_u32 s82, s82, s61                                    // 00000000DFE8: 80523D52
	v_mul_lo_u32 v6, v5, s82                                   // 00000000DFEC: D2850006 0000A505
	v_readlane_b32 s82, v3, 25                                 // 00000000DFF4: D2890052 00013303
	s_lshr_b32 s61, s82, 24                                    // 00000000DFFC: 8F3D9852
	s_and_b32 s82, s82, 0xffffff                               // 00000000E000: 8652FF52 00FFFFFF
	s_mul_i32 s82, s82, s71                                    // 00000000E008: 92524752
	s_mul_i32 s61, s60, s61                                    // 00000000E00C: 923D3D3C
	s_add_u32 s82, s82, s61                                    // 00000000E010: 80523D52
	v_mul_lo_u32 v7, v4, s82                                   // 00000000E014: D2850007 0000A504
	v_add_u32_e32 v76, v6, v7                                  // 00000000E01C: 68980F06
	v_readlane_b32 s82, v3, 26                                 // 00000000E020: D2890052 00013503
	s_lshr_b32 s61, s82, 24                                    // 00000000E028: 8F3D9852
	s_and_b32 s82, s82, 0xffffff                               // 00000000E02C: 8652FF52 00FFFFFF
	s_mul_i32 s82, s82, s71                                    // 00000000E034: 92524752
	s_mul_i32 s61, s60, s61                                    // 00000000E038: 923D3D3C
	s_add_u32 s82, s82, s61                                    // 00000000E03C: 80523D52
	v_mul_lo_u32 v6, v5, s82                                   // 00000000E040: D2850006 0000A505
	v_readlane_b32 s82, v3, 27                                 // 00000000E048: D2890052 00013703
	s_lshr_b32 s61, s82, 24                                    // 00000000E050: 8F3D9852
	s_and_b32 s82, s82, 0xffffff                               // 00000000E054: 8652FF52 00FFFFFF
	s_mul_i32 s82, s82, s71                                    // 00000000E05C: 92524752
	s_mul_i32 s61, s60, s61                                    // 00000000E060: 923D3D3C
	s_add_u32 s82, s82, s61                                    // 00000000E064: 80523D52
	v_mul_lo_u32 v7, v4, s82                                   // 00000000E068: D2850007 0000A504
	v_add_u32_e32 v77, v6, v7                                  // 00000000E070: 689A0F06
	v_readlane_b32 s82, v3, 28                                 // 00000000E074: D2890052 00013903
	s_lshr_b32 s61, s82, 24                                    // 00000000E07C: 8F3D9852
	s_and_b32 s82, s82, 0xffffff                               // 00000000E080: 8652FF52 00FFFFFF
	s_mul_i32 s82, s82, s71                                    // 00000000E088: 92524752
	s_mul_i32 s61, s60, s61                                    // 00000000E08C: 923D3D3C
	s_add_u32 s82, s82, s61                                    // 00000000E090: 80523D52
	v_mul_lo_u32 v6, v5, s82                                   // 00000000E094: D2850006 0000A505
	v_readlane_b32 s82, v3, 29                                 // 00000000E09C: D2890052 00013B03
	s_lshr_b32 s61, s82, 24                                    // 00000000E0A4: 8F3D9852
	s_and_b32 s82, s82, 0xffffff                               // 00000000E0A8: 8652FF52 00FFFFFF
	s_mul_i32 s82, s82, s71                                    // 00000000E0B0: 92524752
	s_mul_i32 s61, s60, s61                                    // 00000000E0B4: 923D3D3C
	s_add_u32 s82, s82, s61                                    // 00000000E0B8: 80523D52
	v_mul_lo_u32 v7, v4, s82                                   // 00000000E0BC: D2850007 0000A504
	v_add_u32_e32 v78, v6, v7                                  // 00000000E0C4: 689C0F06
	v_readlane_b32 s82, v3, 30                                 // 00000000E0C8: D2890052 00013D03
	s_lshr_b32 s61, s82, 24                                    // 00000000E0D0: 8F3D9852
	s_and_b32 s82, s82, 0xffffff                               // 00000000E0D4: 8652FF52 00FFFFFF
	s_mul_i32 s82, s82, s71                                    // 00000000E0DC: 92524752
	s_mul_i32 s61, s60, s61                                    // 00000000E0E0: 923D3D3C
	s_add_u32 s82, s82, s61                                    // 00000000E0E4: 80523D52
	v_mul_lo_u32 v6, v5, s82                                   // 00000000E0E8: D2850006 0000A505
	v_readlane_b32 s82, v3, 31                                 // 00000000E0F0: D2890052 00013F03
	s_lshr_b32 s61, s82, 24                                    // 00000000E0F8: 8F3D9852
	s_and_b32 s82, s82, 0xffffff                               // 00000000E0FC: 8652FF52 00FFFFFF
	s_mul_i32 s82, s82, s71                                    // 00000000E104: 92524752
	s_mul_i32 s61, s60, s61                                    // 00000000E108: 923D3D3C
	s_add_u32 s82, s82, s61                                    // 00000000E10C: 80523D52
	v_mul_lo_u32 v7, v4, s82                                   // 00000000E110: D2850007 0000A504
	v_add_u32_e32 v79, v6, v7                                  // 00000000E118: 689E0F06
	v_readlane_b32 s82, v3, 32                                 // 00000000E11C: D2890052 00014103
	s_lshr_b32 s61, s82, 24                                    // 00000000E124: 8F3D9852
	s_and_b32 s82, s82, 0xffffff                               // 00000000E128: 8652FF52 00FFFFFF
	s_mul_i32 s82, s82, s71                                    // 00000000E130: 92524752
	s_mul_i32 s61, s60, s61                                    // 00000000E134: 923D3D3C
	s_add_u32 s82, s82, s61                                    // 00000000E138: 80523D52
	v_mul_lo_u32 v6, v5, s82                                   // 00000000E13C: D2850006 0000A505
	v_readlane_b32 s82, v3, 33                                 // 00000000E144: D2890052 00014303
	s_lshr_b32 s61, s82, 24                                    // 00000000E14C: 8F3D9852
	s_and_b32 s82, s82, 0xffffff                               // 00000000E150: 8652FF52 00FFFFFF
	s_mul_i32 s82, s82, s71                                    // 00000000E158: 92524752
	s_mul_i32 s61, s60, s61                                    // 00000000E15C: 923D3D3C
	s_add_u32 s82, s82, s61                                    // 00000000E160: 80523D52
	v_mul_lo_u32 v7, v4, s82                                   // 00000000E164: D2850007 0000A504
	v_add_u32_e32 v80, v6, v7                                  // 00000000E16C: 68A00F06
	v_readlane_b32 s82, v3, 34                                 // 00000000E170: D2890052 00014503
	s_lshr_b32 s61, s82, 24                                    // 00000000E178: 8F3D9852
	s_and_b32 s82, s82, 0xffffff                               // 00000000E17C: 8652FF52 00FFFFFF
	s_mul_i32 s82, s82, s71                                    // 00000000E184: 92524752
	s_mul_i32 s61, s60, s61                                    // 00000000E188: 923D3D3C
	s_add_u32 s82, s82, s61                                    // 00000000E18C: 80523D52
	v_mul_lo_u32 v6, v5, s82                                   // 00000000E190: D2850006 0000A505
	v_readlane_b32 s82, v3, 35                                 // 00000000E198: D2890052 00014703
	s_lshr_b32 s61, s82, 24                                    // 00000000E1A0: 8F3D9852
	s_and_b32 s82, s82, 0xffffff                               // 00000000E1A4: 8652FF52 00FFFFFF
	s_mul_i32 s82, s82, s71                                    // 00000000E1AC: 92524752
	s_mul_i32 s61, s60, s61                                    // 00000000E1B0: 923D3D3C
	s_add_u32 s82, s82, s61                                    // 00000000E1B4: 80523D52
	v_mul_lo_u32 v7, v4, s82                                   // 00000000E1B8: D2850007 0000A504
	v_add_u32_e32 v81, v6, v7                                  // 00000000E1C0: 68A20F06
	v_and_b32_e32 v4, 31, v0                                   // 00000000E1C4: 2608009F
	v_lshrrev_b32_e32 v4, 1, v4                                // 00000000E1C8: 20080881
	s_cmp_eq_u32 s88, 0                                        // 00000000E1CC: BF068058
	s_cselect_b32 s61, 2, 4                                    // 00000000E1D0: 853D8482
	v_mul_lo_u32 v4, v4, s61                                   // 00000000E1D4: D2850004 00007B04
	v_and_b32_e64 v5, v0, 1                                    // 00000000E1DC: D1130005 00010300
	v_add_u32_e32 v4, v4, v5                                   // 00000000E1E4: 68080B04
	v_lshlrev_b32_e32 v4, 2, v4                                // 00000000E1E8: 24080882
	v_add_u32_e32 v64, v64, v4                                 // 00000000E1EC: 68800940
	v_add_u32_e32 v65, v65, v4                                 // 00000000E1F0: 68820941
	v_add_u32_e32 v66, v66, v4                                 // 00000000E1F4: 68840942
	v_add_u32_e32 v67, v67, v4                                 // 00000000E1F8: 68860943
	v_add_u32_e32 v68, v68, v4                                 // 00000000E1FC: 68880944
	v_add_u32_e32 v69, v69, v4                                 // 00000000E200: 688A0945
	v_add_u32_e32 v70, v70, v4                                 // 00000000E204: 688C0946
	v_add_u32_e32 v71, v71, v4                                 // 00000000E208: 688E0947
	v_add_u32_e32 v72, v72, v4                                 // 00000000E20C: 68900948
	v_add_u32_e32 v73, v73, v4                                 // 00000000E210: 68920949
	v_add_u32_e32 v74, v74, v4                                 // 00000000E214: 6894094A
	v_add_u32_e32 v75, v75, v4                                 // 00000000E218: 6896094B
	v_add_u32_e32 v76, v76, v4                                 // 00000000E21C: 6898094C
	v_add_u32_e32 v77, v77, v4                                 // 00000000E220: 689A094D
	v_add_u32_e32 v78, v78, v4                                 // 00000000E224: 689C094E
	v_add_u32_e32 v79, v79, v4                                 // 00000000E228: 689E094F
	v_add_u32_e32 v80, v80, v4                                 // 00000000E22C: 68A00950
	v_add_u32_e32 v81, v81, v4                                 // 00000000E230: 68A20951
	s_waitcnt lgkmcnt(0)                                       // 00000000E234: BF8CC07F
	s_barrier                                                  // 00000000E238: BF8A0000
	ds_read_b32 v84, v21                                       // 00000000E23C: D86C0000 54000015
	ds_read_b32 v85, v21 offset:64                             // 00000000E244: D86C0040 55000015
	ds_read_b32 v88, v21 offset:2176                           // 00000000E24C: D86C0880 58000015
	ds_read_b32 v89, v21 offset:2240                           // 00000000E254: D86C08C0 59000015
	ds_read_b32 v92, v21 offset:4352                           // 00000000E25C: D86C1100 5C000015
	ds_read_b32 v93, v21 offset:4416                           // 00000000E264: D86C1140 5D000015
	ds_read_b32 v96, v21 offset:6528                           // 00000000E26C: D86C1980 60000015
	ds_read_b32 v97, v21 offset:6592                           // 00000000E274: D86C19C0 61000015
	ds_read_b32 v100, v21 offset:8704                          // 00000000E27C: D86C2200 64000015
	ds_read_b32 v101, v21 offset:8768                          // 00000000E284: D86C2240 65000015
	ds_read_b32 v104, v21 offset:10880                         // 00000000E28C: D86C2A80 68000015
	ds_read_b32 v105, v21 offset:10944                         // 00000000E294: D86C2AC0 69000015
	ds_read_b32 v108, v21 offset:13056                         // 00000000E29C: D86C3300 6C000015
	ds_read_b32 v109, v21 offset:13120                         // 00000000E2A4: D86C3340 6D000015
	ds_read_b32 v112, v21 offset:15232                         // 00000000E2AC: D86C3B80 70000015
	ds_read_b32 v113, v21 offset:15296                         // 00000000E2B4: D86C3BC0 71000015
	ds_read_b32 v116, v21 offset:17408                         // 00000000E2BC: D86C4400 74000015
	ds_read_b32 v117, v21 offset:17472                         // 00000000E2C4: D86C4440 75000015
	ds_read_b32 v120, v21 offset:19584                         // 00000000E2CC: D86C4C80 78000015
	ds_read_b32 v121, v21 offset:19648                         // 00000000E2D4: D86C4CC0 79000015
	ds_read_b32 v124, v21 offset:21760                         // 00000000E2DC: D86C5500 7C000015
	ds_read_b32 v125, v21 offset:21824                         // 00000000E2E4: D86C5540 7D000015
	ds_read_b32 v128, v21 offset:23936                         // 00000000E2EC: D86C5D80 80000015
	ds_read_b32 v129, v21 offset:24000                         // 00000000E2F4: D86C5DC0 81000015
	ds_read_b32 v132, v21 offset:26112                         // 00000000E2FC: D86C6600 84000015
	ds_read_b32 v133, v21 offset:26176                         // 00000000E304: D86C6640 85000015
	ds_read_b32 v136, v21 offset:28288                         // 00000000E30C: D86C6E80 88000015
	ds_read_b32 v137, v21 offset:28352                         // 00000000E314: D86C6EC0 89000015
	ds_read_b32 v140, v21 offset:30464                         // 00000000E31C: D86C7700 8C000015
	ds_read_b32 v141, v21 offset:30528                         // 00000000E324: D86C7740 8D000015
	ds_read_b32 v144, v21 offset:32640                         // 00000000E32C: D86C7F80 90000015
	ds_read_b32 v145, v21 offset:32704                         // 00000000E334: D86C7FC0 91000015
	ds_read_b32 v148, v21 offset:34816                         // 00000000E33C: D86C8800 94000015
	ds_read_b32 v149, v21 offset:34880                         // 00000000E344: D86C8840 95000015
	ds_read_b32 v152, v21 offset:36992                         // 00000000E34C: D86C9080 98000015
	ds_read_b32 v153, v21 offset:37056                         // 00000000E354: D86C90C0 99000015
	s_waitcnt lgkmcnt(0)                                       // 00000000E35C: BF8CC07F
	s_mov_b32 s36, -1                                          // 00000000E360: BEA400C1
	s_mov_b32 s37, -1                                          // 00000000E364: BEA500C1
	v_mov_b32_e32 v7, 0                                        // 00000000E368: 7E0E0280
	s_mov_b64 exec, s[36:37]                                   // 00000000E36C: BEFE0124
	v_mov_b32_e32 v6, v64                                      // 00000000E370: 7E0C0340
	s_mov_b64 s[60:61], 0                                      // 00000000E374: BEBC0180
	v_readlane_b32 s82, v3, 0                                  // 00000000E378: D2890052 00010103
	s_and_b32 s82, s82, 0xffffff                               // 00000000E380: 8652FF52 00FFFFFF
	s_cmp_lt_u32 s82, s66                                      // 00000000E388: BF0A4252
	s_cselect_b32 s20, s36, s60                                // 00000000E38C: 85143C24
	v_readlane_b32 s82, v3, 1                                  // 00000000E390: D2890052 00010303
	s_and_b32 s82, s82, 0xffffff                               // 00000000E398: 8652FF52 00FFFFFF
	s_cmp_lt_u32 s82, s66                                      // 00000000E3A0: BF0A4252
	s_cselect_b32 s21, s36, s60                                // 00000000E3A4: 85153C24
	s_mov_b64 exec, s[20:21]                                   // 00000000E3A8: BEFE0114
	global_atomic_add_f32 v6, v84, s[8:9]                      // 00000000E3AC: DD348000 00085406
	global_atomic_add_f32 v6, v88, s[8:9] offset:256           // 00000000E3B4: DD348100 00085806
	s_mov_b64 exec, s[36:37]                                   // 00000000E3BC: BEFE0124
	v_mov_b32_e32 v6, v65                                      // 00000000E3C0: 7E0C0341
	s_mov_b64 s[60:61], 0                                      // 00000000E3C4: BEBC0180
	v_readlane_b32 s82, v3, 2                                  // 00000000E3C8: D2890052 00010503
	s_and_b32 s82, s82, 0xffffff                               // 00000000E3D0: 8652FF52 00FFFFFF
	s_cmp_lt_u32 s82, s66                                      // 00000000E3D8: BF0A4252
	s_cselect_b32 s20, s36, s60                                // 00000000E3DC: 85143C24
	v_readlane_b32 s82, v3, 3                                  // 00000000E3E0: D2890052 00010703
	s_and_b32 s82, s82, 0xffffff                               // 00000000E3E8: 8652FF52 00FFFFFF
	s_cmp_lt_u32 s82, s66                                      // 00000000E3F0: BF0A4252
	s_cselect_b32 s21, s36, s60                                // 00000000E3F4: 85153C24
	s_mov_b64 exec, s[20:21]                                   // 00000000E3F8: BEFE0114
	global_atomic_add_f32 v6, v85, s[8:9]                      // 00000000E3FC: DD348000 00085506
	global_atomic_add_f32 v6, v89, s[8:9] offset:256           // 00000000E404: DD348100 00085906
	s_mov_b64 exec, s[36:37]                                   // 00000000E40C: BEFE0124
	v_mov_b32_e32 v6, v66                                      // 00000000E410: 7E0C0342
	s_mov_b64 s[60:61], 0                                      // 00000000E414: BEBC0180
	v_readlane_b32 s82, v3, 4                                  // 00000000E418: D2890052 00010903
	s_and_b32 s82, s82, 0xffffff                               // 00000000E420: 8652FF52 00FFFFFF
	s_cmp_lt_u32 s82, s66                                      // 00000000E428: BF0A4252
	s_cselect_b32 s20, s36, s60                                // 00000000E42C: 85143C24
	v_readlane_b32 s82, v3, 5                                  // 00000000E430: D2890052 00010B03
	s_and_b32 s82, s82, 0xffffff                               // 00000000E438: 8652FF52 00FFFFFF
	s_cmp_lt_u32 s82, s66                                      // 00000000E440: BF0A4252
	s_cselect_b32 s21, s36, s60                                // 00000000E444: 85153C24
	s_mov_b64 exec, s[20:21]                                   // 00000000E448: BEFE0114
	global_atomic_add_f32 v6, v92, s[8:9]                      // 00000000E44C: DD348000 00085C06
	global_atomic_add_f32 v6, v96, s[8:9] offset:256           // 00000000E454: DD348100 00086006
	s_mov_b64 exec, s[36:37]                                   // 00000000E45C: BEFE0124
	v_mov_b32_e32 v6, v67                                      // 00000000E460: 7E0C0343
	s_mov_b64 s[60:61], 0                                      // 00000000E464: BEBC0180
	v_readlane_b32 s82, v3, 6                                  // 00000000E468: D2890052 00010D03
	s_and_b32 s82, s82, 0xffffff                               // 00000000E470: 8652FF52 00FFFFFF
	s_cmp_lt_u32 s82, s66                                      // 00000000E478: BF0A4252
	s_cselect_b32 s20, s36, s60                                // 00000000E47C: 85143C24
	v_readlane_b32 s82, v3, 7                                  // 00000000E480: D2890052 00010F03
	s_and_b32 s82, s82, 0xffffff                               // 00000000E488: 8652FF52 00FFFFFF
	s_cmp_lt_u32 s82, s66                                      // 00000000E490: BF0A4252
	s_cselect_b32 s21, s36, s60                                // 00000000E494: 85153C24
	s_mov_b64 exec, s[20:21]                                   // 00000000E498: BEFE0114
	global_atomic_add_f32 v6, v93, s[8:9]                      // 00000000E49C: DD348000 00085D06
	global_atomic_add_f32 v6, v97, s[8:9] offset:256           // 00000000E4A4: DD348100 00086106
	s_mov_b64 exec, s[36:37]                                   // 00000000E4AC: BEFE0124
	v_mov_b32_e32 v6, v68                                      // 00000000E4B0: 7E0C0344
	s_mov_b64 s[60:61], 0                                      // 00000000E4B4: BEBC0180
	v_readlane_b32 s82, v3, 8                                  // 00000000E4B8: D2890052 00011103
	s_and_b32 s82, s82, 0xffffff                               // 00000000E4C0: 8652FF52 00FFFFFF
	s_cmp_lt_u32 s82, s66                                      // 00000000E4C8: BF0A4252
	s_cselect_b32 s20, s36, s60                                // 00000000E4CC: 85143C24
	v_readlane_b32 s82, v3, 9                                  // 00000000E4D0: D2890052 00011303
	s_and_b32 s82, s82, 0xffffff                               // 00000000E4D8: 8652FF52 00FFFFFF
	s_cmp_lt_u32 s82, s66                                      // 00000000E4E0: BF0A4252
	s_cselect_b32 s21, s36, s60                                // 00000000E4E4: 85153C24
	s_mov_b64 exec, s[20:21]                                   // 00000000E4E8: BEFE0114
	global_atomic_add_f32 v6, v100, s[8:9]                     // 00000000E4EC: DD348000 00086406
	global_atomic_add_f32 v6, v104, s[8:9] offset:256          // 00000000E4F4: DD348100 00086806
	s_mov_b64 exec, s[36:37]                                   // 00000000E4FC: BEFE0124
	v_mov_b32_e32 v6, v69                                      // 00000000E500: 7E0C0345
	s_mov_b64 s[60:61], 0                                      // 00000000E504: BEBC0180
	v_readlane_b32 s82, v3, 10                                 // 00000000E508: D2890052 00011503
	s_and_b32 s82, s82, 0xffffff                               // 00000000E510: 8652FF52 00FFFFFF
	s_cmp_lt_u32 s82, s66                                      // 00000000E518: BF0A4252
	s_cselect_b32 s20, s36, s60                                // 00000000E51C: 85143C24
	v_readlane_b32 s82, v3, 11                                 // 00000000E520: D2890052 00011703
	s_and_b32 s82, s82, 0xffffff                               // 00000000E528: 8652FF52 00FFFFFF
	s_cmp_lt_u32 s82, s66                                      // 00000000E530: BF0A4252
	s_cselect_b32 s21, s36, s60                                // 00000000E534: 85153C24
	s_mov_b64 exec, s[20:21]                                   // 00000000E538: BEFE0114
	global_atomic_add_f32 v6, v101, s[8:9]                     // 00000000E53C: DD348000 00086506
	global_atomic_add_f32 v6, v105, s[8:9] offset:256          // 00000000E544: DD348100 00086906
	s_mov_b64 exec, s[36:37]                                   // 00000000E54C: BEFE0124
	v_mov_b32_e32 v6, v70                                      // 00000000E550: 7E0C0346
	s_mov_b64 s[60:61], 0                                      // 00000000E554: BEBC0180
	v_readlane_b32 s82, v3, 12                                 // 00000000E558: D2890052 00011903
	s_and_b32 s82, s82, 0xffffff                               // 00000000E560: 8652FF52 00FFFFFF
	s_cmp_lt_u32 s82, s66                                      // 00000000E568: BF0A4252
	s_cselect_b32 s20, s36, s60                                // 00000000E56C: 85143C24
	v_readlane_b32 s82, v3, 13                                 // 00000000E570: D2890052 00011B03
	s_and_b32 s82, s82, 0xffffff                               // 00000000E578: 8652FF52 00FFFFFF
	s_cmp_lt_u32 s82, s66                                      // 00000000E580: BF0A4252
	s_cselect_b32 s21, s36, s60                                // 00000000E584: 85153C24
	s_mov_b64 exec, s[20:21]                                   // 00000000E588: BEFE0114
	global_atomic_add_f32 v6, v108, s[8:9]                     // 00000000E58C: DD348000 00086C06
	global_atomic_add_f32 v6, v112, s[8:9] offset:256          // 00000000E594: DD348100 00087006
	s_mov_b64 exec, s[36:37]                                   // 00000000E59C: BEFE0124
	v_mov_b32_e32 v6, v71                                      // 00000000E5A0: 7E0C0347
	s_mov_b64 s[60:61], 0                                      // 00000000E5A4: BEBC0180
	v_readlane_b32 s82, v3, 14                                 // 00000000E5A8: D2890052 00011D03
	s_and_b32 s82, s82, 0xffffff                               // 00000000E5B0: 8652FF52 00FFFFFF
	s_cmp_lt_u32 s82, s66                                      // 00000000E5B8: BF0A4252
	s_cselect_b32 s20, s36, s60                                // 00000000E5BC: 85143C24
	v_readlane_b32 s82, v3, 15                                 // 00000000E5C0: D2890052 00011F03
	s_and_b32 s82, s82, 0xffffff                               // 00000000E5C8: 8652FF52 00FFFFFF
	s_cmp_lt_u32 s82, s66                                      // 00000000E5D0: BF0A4252
	s_cselect_b32 s21, s36, s60                                // 00000000E5D4: 85153C24
	s_mov_b64 exec, s[20:21]                                   // 00000000E5D8: BEFE0114
	global_atomic_add_f32 v6, v109, s[8:9]                     // 00000000E5DC: DD348000 00086D06
	global_atomic_add_f32 v6, v113, s[8:9] offset:256          // 00000000E5E4: DD348100 00087106
	s_mov_b64 exec, s[36:37]                                   // 00000000E5EC: BEFE0124
	v_mov_b32_e32 v6, v72                                      // 00000000E5F0: 7E0C0348
	s_mov_b64 s[60:61], 0                                      // 00000000E5F4: BEBC0180
	v_readlane_b32 s82, v3, 16                                 // 00000000E5F8: D2890052 00012103
	s_and_b32 s82, s82, 0xffffff                               // 00000000E600: 8652FF52 00FFFFFF
	s_cmp_lt_u32 s82, s66                                      // 00000000E608: BF0A4252
	s_cselect_b32 s20, s36, s60                                // 00000000E60C: 85143C24
	v_readlane_b32 s82, v3, 17                                 // 00000000E610: D2890052 00012303
	s_and_b32 s82, s82, 0xffffff                               // 00000000E618: 8652FF52 00FFFFFF
	s_cmp_lt_u32 s82, s66                                      // 00000000E620: BF0A4252
	s_cselect_b32 s21, s36, s60                                // 00000000E624: 85153C24
	s_mov_b64 exec, s[20:21]                                   // 00000000E628: BEFE0114
	global_atomic_add_f32 v6, v116, s[8:9]                     // 00000000E62C: DD348000 00087406
	global_atomic_add_f32 v6, v120, s[8:9] offset:256          // 00000000E634: DD348100 00087806
	s_mov_b64 exec, s[36:37]                                   // 00000000E63C: BEFE0124
	v_mov_b32_e32 v6, v73                                      // 00000000E640: 7E0C0349
	s_mov_b64 s[60:61], 0                                      // 00000000E644: BEBC0180
	v_readlane_b32 s82, v3, 18                                 // 00000000E648: D2890052 00012503
	s_and_b32 s82, s82, 0xffffff                               // 00000000E650: 8652FF52 00FFFFFF
	s_cmp_lt_u32 s82, s66                                      // 00000000E658: BF0A4252
	s_cselect_b32 s20, s36, s60                                // 00000000E65C: 85143C24
	v_readlane_b32 s82, v3, 19                                 // 00000000E660: D2890052 00012703
	s_and_b32 s82, s82, 0xffffff                               // 00000000E668: 8652FF52 00FFFFFF
	s_cmp_lt_u32 s82, s66                                      // 00000000E670: BF0A4252
	s_cselect_b32 s21, s36, s60                                // 00000000E674: 85153C24
	s_mov_b64 exec, s[20:21]                                   // 00000000E678: BEFE0114
	global_atomic_add_f32 v6, v117, s[8:9]                     // 00000000E67C: DD348000 00087506
	global_atomic_add_f32 v6, v121, s[8:9] offset:256          // 00000000E684: DD348100 00087906
	s_mov_b64 exec, s[36:37]                                   // 00000000E68C: BEFE0124
	v_mov_b32_e32 v6, v74                                      // 00000000E690: 7E0C034A
	s_mov_b64 s[60:61], 0                                      // 00000000E694: BEBC0180
	v_readlane_b32 s82, v3, 20                                 // 00000000E698: D2890052 00012903
	s_and_b32 s82, s82, 0xffffff                               // 00000000E6A0: 8652FF52 00FFFFFF
	s_cmp_lt_u32 s82, s66                                      // 00000000E6A8: BF0A4252
	s_cselect_b32 s20, s36, s60                                // 00000000E6AC: 85143C24
	v_readlane_b32 s82, v3, 21                                 // 00000000E6B0: D2890052 00012B03
	s_and_b32 s82, s82, 0xffffff                               // 00000000E6B8: 8652FF52 00FFFFFF
	s_cmp_lt_u32 s82, s66                                      // 00000000E6C0: BF0A4252
	s_cselect_b32 s21, s36, s60                                // 00000000E6C4: 85153C24
	s_mov_b64 exec, s[20:21]                                   // 00000000E6C8: BEFE0114
	global_atomic_add_f32 v6, v124, s[8:9]                     // 00000000E6CC: DD348000 00087C06
	global_atomic_add_f32 v6, v128, s[8:9] offset:256          // 00000000E6D4: DD348100 00088006
	s_mov_b64 exec, s[36:37]                                   // 00000000E6DC: BEFE0124
	v_mov_b32_e32 v6, v75                                      // 00000000E6E0: 7E0C034B
	s_mov_b64 s[60:61], 0                                      // 00000000E6E4: BEBC0180
	v_readlane_b32 s82, v3, 22                                 // 00000000E6E8: D2890052 00012D03
	s_and_b32 s82, s82, 0xffffff                               // 00000000E6F0: 8652FF52 00FFFFFF
	s_cmp_lt_u32 s82, s66                                      // 00000000E6F8: BF0A4252
	s_cselect_b32 s20, s36, s60                                // 00000000E6FC: 85143C24
	v_readlane_b32 s82, v3, 23                                 // 00000000E700: D2890052 00012F03
	s_and_b32 s82, s82, 0xffffff                               // 00000000E708: 8652FF52 00FFFFFF
	s_cmp_lt_u32 s82, s66                                      // 00000000E710: BF0A4252
	s_cselect_b32 s21, s36, s60                                // 00000000E714: 85153C24
	s_mov_b64 exec, s[20:21]                                   // 00000000E718: BEFE0114
	global_atomic_add_f32 v6, v125, s[8:9]                     // 00000000E71C: DD348000 00087D06
	global_atomic_add_f32 v6, v129, s[8:9] offset:256          // 00000000E724: DD348100 00088106
	s_mov_b64 exec, s[36:37]                                   // 00000000E72C: BEFE0124
	v_mov_b32_e32 v6, v76                                      // 00000000E730: 7E0C034C
	s_mov_b64 s[60:61], 0                                      // 00000000E734: BEBC0180
	v_readlane_b32 s82, v3, 24                                 // 00000000E738: D2890052 00013103
	s_and_b32 s82, s82, 0xffffff                               // 00000000E740: 8652FF52 00FFFFFF
	s_cmp_lt_u32 s82, s66                                      // 00000000E748: BF0A4252
	s_cselect_b32 s20, s36, s60                                // 00000000E74C: 85143C24
	v_readlane_b32 s82, v3, 25                                 // 00000000E750: D2890052 00013303
	s_and_b32 s82, s82, 0xffffff                               // 00000000E758: 8652FF52 00FFFFFF
	s_cmp_lt_u32 s82, s66                                      // 00000000E760: BF0A4252
	s_cselect_b32 s21, s36, s60                                // 00000000E764: 85153C24
	s_mov_b64 exec, s[20:21]                                   // 00000000E768: BEFE0114
	global_atomic_add_f32 v6, v132, s[8:9]                     // 00000000E76C: DD348000 00088406
	global_atomic_add_f32 v6, v136, s[8:9] offset:256          // 00000000E774: DD348100 00088806
	s_mov_b64 exec, s[36:37]                                   // 00000000E77C: BEFE0124
	v_mov_b32_e32 v6, v77                                      // 00000000E780: 7E0C034D
	s_mov_b64 s[60:61], 0                                      // 00000000E784: BEBC0180
	v_readlane_b32 s82, v3, 26                                 // 00000000E788: D2890052 00013503
	s_and_b32 s82, s82, 0xffffff                               // 00000000E790: 8652FF52 00FFFFFF
	s_cmp_lt_u32 s82, s66                                      // 00000000E798: BF0A4252
	s_cselect_b32 s20, s36, s60                                // 00000000E79C: 85143C24
	v_readlane_b32 s82, v3, 27                                 // 00000000E7A0: D2890052 00013703
	s_and_b32 s82, s82, 0xffffff                               // 00000000E7A8: 8652FF52 00FFFFFF
	s_cmp_lt_u32 s82, s66                                      // 00000000E7B0: BF0A4252
	s_cselect_b32 s21, s36, s60                                // 00000000E7B4: 85153C24
	s_mov_b64 exec, s[20:21]                                   // 00000000E7B8: BEFE0114
	global_atomic_add_f32 v6, v133, s[8:9]                     // 00000000E7BC: DD348000 00088506
	global_atomic_add_f32 v6, v137, s[8:9] offset:256          // 00000000E7C4: DD348100 00088906
	s_mov_b64 exec, s[36:37]                                   // 00000000E7CC: BEFE0124
	v_mov_b32_e32 v6, v78                                      // 00000000E7D0: 7E0C034E
	s_mov_b64 s[60:61], 0                                      // 00000000E7D4: BEBC0180
	v_readlane_b32 s82, v3, 28                                 // 00000000E7D8: D2890052 00013903
	s_and_b32 s82, s82, 0xffffff                               // 00000000E7E0: 8652FF52 00FFFFFF
	s_cmp_lt_u32 s82, s66                                      // 00000000E7E8: BF0A4252
	s_cselect_b32 s20, s36, s60                                // 00000000E7EC: 85143C24
	v_readlane_b32 s82, v3, 29                                 // 00000000E7F0: D2890052 00013B03
	s_and_b32 s82, s82, 0xffffff                               // 00000000E7F8: 8652FF52 00FFFFFF
	s_cmp_lt_u32 s82, s66                                      // 00000000E800: BF0A4252
	s_cselect_b32 s21, s36, s60                                // 00000000E804: 85153C24
	s_mov_b64 exec, s[20:21]                                   // 00000000E808: BEFE0114
	global_atomic_add_f32 v6, v140, s[8:9]                     // 00000000E80C: DD348000 00088C06
	global_atomic_add_f32 v6, v144, s[8:9] offset:256          // 00000000E814: DD348100 00089006
	s_mov_b64 exec, s[36:37]                                   // 00000000E81C: BEFE0124
	v_mov_b32_e32 v6, v79                                      // 00000000E820: 7E0C034F
	s_mov_b64 s[60:61], 0                                      // 00000000E824: BEBC0180
	v_readlane_b32 s82, v3, 30                                 // 00000000E828: D2890052 00013D03
	s_and_b32 s82, s82, 0xffffff                               // 00000000E830: 8652FF52 00FFFFFF
	s_cmp_lt_u32 s82, s66                                      // 00000000E838: BF0A4252
	s_cselect_b32 s20, s36, s60                                // 00000000E83C: 85143C24
	v_readlane_b32 s82, v3, 31                                 // 00000000E840: D2890052 00013F03
	s_and_b32 s82, s82, 0xffffff                               // 00000000E848: 8652FF52 00FFFFFF
	s_cmp_lt_u32 s82, s66                                      // 00000000E850: BF0A4252
	s_cselect_b32 s21, s36, s60                                // 00000000E854: 85153C24
	s_mov_b64 exec, s[20:21]                                   // 00000000E858: BEFE0114
	global_atomic_add_f32 v6, v141, s[8:9]                     // 00000000E85C: DD348000 00088D06
	global_atomic_add_f32 v6, v145, s[8:9] offset:256          // 00000000E864: DD348100 00089106
	s_mov_b64 exec, s[36:37]                                   // 00000000E86C: BEFE0124
	v_mov_b32_e32 v6, v80                                      // 00000000E870: 7E0C0350
	s_mov_b64 s[60:61], 0                                      // 00000000E874: BEBC0180
	v_readlane_b32 s82, v3, 32                                 // 00000000E878: D2890052 00014103
	s_and_b32 s82, s82, 0xffffff                               // 00000000E880: 8652FF52 00FFFFFF
	s_cmp_lt_u32 s82, s66                                      // 00000000E888: BF0A4252
	s_cselect_b32 s20, s36, s60                                // 00000000E88C: 85143C24
	v_readlane_b32 s82, v3, 33                                 // 00000000E890: D2890052 00014303
	s_and_b32 s82, s82, 0xffffff                               // 00000000E898: 8652FF52 00FFFFFF
	s_cmp_lt_u32 s82, s66                                      // 00000000E8A0: BF0A4252
	s_cselect_b32 s21, s36, s60                                // 00000000E8A4: 85153C24
	s_mov_b64 exec, s[20:21]                                   // 00000000E8A8: BEFE0114
	global_atomic_add_f32 v6, v148, s[8:9]                     // 00000000E8AC: DD348000 00089406
	global_atomic_add_f32 v6, v152, s[8:9] offset:256          // 00000000E8B4: DD348100 00089806
	s_mov_b64 exec, s[36:37]                                   // 00000000E8BC: BEFE0124
	v_mov_b32_e32 v6, v81                                      // 00000000E8C0: 7E0C0351
	s_mov_b64 s[60:61], 0                                      // 00000000E8C4: BEBC0180
	v_readlane_b32 s82, v3, 34                                 // 00000000E8C8: D2890052 00014503
	s_and_b32 s82, s82, 0xffffff                               // 00000000E8D0: 8652FF52 00FFFFFF
	s_cmp_lt_u32 s82, s66                                      // 00000000E8D8: BF0A4252
	s_cselect_b32 s20, s36, s60                                // 00000000E8DC: 85143C24
	v_readlane_b32 s82, v3, 35                                 // 00000000E8E0: D2890052 00014703
	s_and_b32 s82, s82, 0xffffff                               // 00000000E8E8: 8652FF52 00FFFFFF
	s_cmp_lt_u32 s82, s66                                      // 00000000E8F0: BF0A4252
	s_cselect_b32 s21, s36, s60                                // 00000000E8F4: 85153C24
	s_mov_b64 exec, s[20:21]                                   // 00000000E8F8: BEFE0114
	global_atomic_add_f32 v6, v149, s[8:9]                     // 00000000E8FC: DD348000 00089506
	global_atomic_add_f32 v6, v153, s[8:9] offset:256          // 00000000E904: DD348100 00089906
	s_mov_b64 exec, s[36:37]                                   // 00000000E90C: BEFE0124
	ds_write_b64 v20, v[86:87]                                 // 00000000E910: D89A0000 00005614
	ds_write_b64 v20, v[90:91] offset:4352                     // 00000000E918: D89A1100 00005A14
	ds_write_b64 v20, v[94:95] offset:8704                     // 00000000E920: D89A2200 00005E14
	ds_write_b64 v20, v[98:99] offset:13056                    // 00000000E928: D89A3300 00006214
	ds_write_b64 v20, v[102:103] offset:17408                  // 00000000E930: D89A4400 00006614
	ds_write_b64 v20, v[106:107] offset:21760                  // 00000000E938: D89A5500 00006A14
	ds_write_b64 v20, v[110:111] offset:26112                  // 00000000E940: D89A6600 00006E14
	ds_write_b64 v20, v[114:115] offset:30464                  // 00000000E948: D89A7700 00007214
	ds_write_b64 v20, v[118:119] offset:34816                  // 00000000E950: D89A8800 00007614
	ds_write_b64 v20, v[122:123] offset:2176                   // 00000000E958: D89A0880 00007A14
	ds_write_b64 v20, v[126:127] offset:6528                   // 00000000E960: D89A1980 00007E14
	ds_write_b64 v20, v[130:131] offset:10880                  // 00000000E968: D89A2A80 00008214
	ds_write_b64 v20, v[134:135] offset:15232                  // 00000000E970: D89A3B80 00008614
	ds_write_b64 v20, v[138:139] offset:19584                  // 00000000E978: D89A4C80 00008A14
	ds_write_b64 v20, v[142:143] offset:23936                  // 00000000E980: D89A5D80 00008E14
	ds_write_b64 v20, v[146:147] offset:28288                  // 00000000E988: D89A6E80 00009214
	ds_write_b64 v20, v[150:151] offset:32640                  // 00000000E990: D89A7F80 00009614
	ds_write_b64 v20, v[154:155] offset:36992                  // 00000000E998: D89A9080 00009A14
	s_waitcnt lgkmcnt(0)                                       // 00000000E9A0: BF8CC07F
	s_barrier                                                  // 00000000E9A4: BF8A0000
	ds_read_b32 v86, v21                                       // 00000000E9A8: D86C0000 56000015
	ds_read_b32 v87, v21 offset:64                             // 00000000E9B0: D86C0040 57000015
	ds_read_b32 v90, v21 offset:2176                           // 00000000E9B8: D86C0880 5A000015
	ds_read_b32 v91, v21 offset:2240                           // 00000000E9C0: D86C08C0 5B000015
	ds_read_b32 v94, v21 offset:4352                           // 00000000E9C8: D86C1100 5E000015
	ds_read_b32 v95, v21 offset:4416                           // 00000000E9D0: D86C1140 5F000015
	ds_read_b32 v98, v21 offset:6528                           // 00000000E9D8: D86C1980 62000015
	ds_read_b32 v99, v21 offset:6592                           // 00000000E9E0: D86C19C0 63000015
	ds_read_b32 v102, v21 offset:8704                          // 00000000E9E8: D86C2200 66000015
	ds_read_b32 v103, v21 offset:8768                          // 00000000E9F0: D86C2240 67000015
	ds_read_b32 v106, v21 offset:10880                         // 00000000E9F8: D86C2A80 6A000015
	ds_read_b32 v107, v21 offset:10944                         // 00000000EA00: D86C2AC0 6B000015
	ds_read_b32 v110, v21 offset:13056                         // 00000000EA08: D86C3300 6E000015
	ds_read_b32 v111, v21 offset:13120                         // 00000000EA10: D86C3340 6F000015
	ds_read_b32 v114, v21 offset:15232                         // 00000000EA18: D86C3B80 72000015
	ds_read_b32 v115, v21 offset:15296                         // 00000000EA20: D86C3BC0 73000015
	ds_read_b32 v118, v21 offset:17408                         // 00000000EA28: D86C4400 76000015
	ds_read_b32 v119, v21 offset:17472                         // 00000000EA30: D86C4440 77000015
	ds_read_b32 v122, v21 offset:19584                         // 00000000EA38: D86C4C80 7A000015
	ds_read_b32 v123, v21 offset:19648                         // 00000000EA40: D86C4CC0 7B000015
	ds_read_b32 v126, v21 offset:21760                         // 00000000EA48: D86C5500 7E000015
	ds_read_b32 v127, v21 offset:21824                         // 00000000EA50: D86C5540 7F000015
	ds_read_b32 v130, v21 offset:23936                         // 00000000EA58: D86C5D80 82000015
	ds_read_b32 v131, v21 offset:24000                         // 00000000EA60: D86C5DC0 83000015
	ds_read_b32 v134, v21 offset:26112                         // 00000000EA68: D86C6600 86000015
	ds_read_b32 v135, v21 offset:26176                         // 00000000EA70: D86C6640 87000015
	ds_read_b32 v138, v21 offset:28288                         // 00000000EA78: D86C6E80 8A000015
	ds_read_b32 v139, v21 offset:28352                         // 00000000EA80: D86C6EC0 8B000015
	ds_read_b32 v142, v21 offset:30464                         // 00000000EA88: D86C7700 8E000015
	ds_read_b32 v143, v21 offset:30528                         // 00000000EA90: D86C7740 8F000015
	ds_read_b32 v146, v21 offset:32640                         // 00000000EA98: D86C7F80 92000015
	ds_read_b32 v147, v21 offset:32704                         // 00000000EAA0: D86C7FC0 93000015
	ds_read_b32 v150, v21 offset:34816                         // 00000000EAA8: D86C8800 96000015
	ds_read_b32 v151, v21 offset:34880                         // 00000000EAB0: D86C8840 97000015
	ds_read_b32 v154, v21 offset:36992                         // 00000000EAB8: D86C9080 9A000015
	ds_read_b32 v155, v21 offset:37056                         // 00000000EAC0: D86C90C0 9B000015
	s_waitcnt lgkmcnt(0)                                       // 00000000EAC8: BF8CC07F
	v_mov_b32_e32 v7, 0                                        // 00000000EACC: 7E0E0280
	s_mov_b64 exec, s[36:37]                                   // 00000000EAD0: BEFE0124
	v_mov_b32_e32 v6, v64                                      // 00000000EAD4: 7E0C0340
	s_mov_b64 s[60:61], 0                                      // 00000000EAD8: BEBC0180
	v_readlane_b32 s82, v3, 0                                  // 00000000EADC: D2890052 00010103
	s_and_b32 s82, s82, 0xffffff                               // 00000000EAE4: 8652FF52 00FFFFFF
	s_cmp_lt_u32 s82, s66                                      // 00000000EAEC: BF0A4252
	s_cselect_b32 s20, s36, s60                                // 00000000EAF0: 85143C24
	v_readlane_b32 s82, v3, 1                                  // 00000000EAF4: D2890052 00010303
	s_and_b32 s82, s82, 0xffffff                               // 00000000EAFC: 8652FF52 00FFFFFF
	s_cmp_lt_u32 s82, s66                                      // 00000000EB04: BF0A4252
	s_cselect_b32 s21, s36, s60                                // 00000000EB08: 85153C24
	s_mov_b64 exec, s[20:21]                                   // 00000000EB0C: BEFE0114
	global_atomic_add_f32 v6, v86, s[8:9] offset:8             // 00000000EB10: DD348008 00085606
	global_atomic_add_f32 v6, v90, s[8:9] offset:264           // 00000000EB18: DD348108 00085A06
	s_mov_b64 exec, s[36:37]                                   // 00000000EB20: BEFE0124
	v_mov_b32_e32 v6, v65                                      // 00000000EB24: 7E0C0341
	s_mov_b64 s[60:61], 0                                      // 00000000EB28: BEBC0180
	v_readlane_b32 s82, v3, 2                                  // 00000000EB2C: D2890052 00010503
	s_and_b32 s82, s82, 0xffffff                               // 00000000EB34: 8652FF52 00FFFFFF
	s_cmp_lt_u32 s82, s66                                      // 00000000EB3C: BF0A4252
	s_cselect_b32 s20, s36, s60                                // 00000000EB40: 85143C24
	v_readlane_b32 s82, v3, 3                                  // 00000000EB44: D2890052 00010703
	s_and_b32 s82, s82, 0xffffff                               // 00000000EB4C: 8652FF52 00FFFFFF
	s_cmp_lt_u32 s82, s66                                      // 00000000EB54: BF0A4252
	s_cselect_b32 s21, s36, s60                                // 00000000EB58: 85153C24
	s_mov_b64 exec, s[20:21]                                   // 00000000EB5C: BEFE0114
	global_atomic_add_f32 v6, v87, s[8:9] offset:8             // 00000000EB60: DD348008 00085706
	global_atomic_add_f32 v6, v91, s[8:9] offset:264           // 00000000EB68: DD348108 00085B06
	s_mov_b64 exec, s[36:37]                                   // 00000000EB70: BEFE0124
	v_mov_b32_e32 v6, v66                                      // 00000000EB74: 7E0C0342
	s_mov_b64 s[60:61], 0                                      // 00000000EB78: BEBC0180
	v_readlane_b32 s82, v3, 4                                  // 00000000EB7C: D2890052 00010903
	s_and_b32 s82, s82, 0xffffff                               // 00000000EB84: 8652FF52 00FFFFFF
	s_cmp_lt_u32 s82, s66                                      // 00000000EB8C: BF0A4252
	s_cselect_b32 s20, s36, s60                                // 00000000EB90: 85143C24
	v_readlane_b32 s82, v3, 5                                  // 00000000EB94: D2890052 00010B03
	s_and_b32 s82, s82, 0xffffff                               // 00000000EB9C: 8652FF52 00FFFFFF
	s_cmp_lt_u32 s82, s66                                      // 00000000EBA4: BF0A4252
	s_cselect_b32 s21, s36, s60                                // 00000000EBA8: 85153C24
	s_mov_b64 exec, s[20:21]                                   // 00000000EBAC: BEFE0114
	global_atomic_add_f32 v6, v94, s[8:9] offset:8             // 00000000EBB0: DD348008 00085E06
	global_atomic_add_f32 v6, v98, s[8:9] offset:264           // 00000000EBB8: DD348108 00086206
	s_mov_b64 exec, s[36:37]                                   // 00000000EBC0: BEFE0124
	v_mov_b32_e32 v6, v67                                      // 00000000EBC4: 7E0C0343
	s_mov_b64 s[60:61], 0                                      // 00000000EBC8: BEBC0180
	v_readlane_b32 s82, v3, 6                                  // 00000000EBCC: D2890052 00010D03
	s_and_b32 s82, s82, 0xffffff                               // 00000000EBD4: 8652FF52 00FFFFFF
	s_cmp_lt_u32 s82, s66                                      // 00000000EBDC: BF0A4252
	s_cselect_b32 s20, s36, s60                                // 00000000EBE0: 85143C24
	v_readlane_b32 s82, v3, 7                                  // 00000000EBE4: D2890052 00010F03
	s_and_b32 s82, s82, 0xffffff                               // 00000000EBEC: 8652FF52 00FFFFFF
	s_cmp_lt_u32 s82, s66                                      // 00000000EBF4: BF0A4252
	s_cselect_b32 s21, s36, s60                                // 00000000EBF8: 85153C24
	s_mov_b64 exec, s[20:21]                                   // 00000000EBFC: BEFE0114
	global_atomic_add_f32 v6, v95, s[8:9] offset:8             // 00000000EC00: DD348008 00085F06
	global_atomic_add_f32 v6, v99, s[8:9] offset:264           // 00000000EC08: DD348108 00086306
	s_mov_b64 exec, s[36:37]                                   // 00000000EC10: BEFE0124
	v_mov_b32_e32 v6, v68                                      // 00000000EC14: 7E0C0344
	s_mov_b64 s[60:61], 0                                      // 00000000EC18: BEBC0180
	v_readlane_b32 s82, v3, 8                                  // 00000000EC1C: D2890052 00011103
	s_and_b32 s82, s82, 0xffffff                               // 00000000EC24: 8652FF52 00FFFFFF
	s_cmp_lt_u32 s82, s66                                      // 00000000EC2C: BF0A4252
	s_cselect_b32 s20, s36, s60                                // 00000000EC30: 85143C24
	v_readlane_b32 s82, v3, 9                                  // 00000000EC34: D2890052 00011303
	s_and_b32 s82, s82, 0xffffff                               // 00000000EC3C: 8652FF52 00FFFFFF
	s_cmp_lt_u32 s82, s66                                      // 00000000EC44: BF0A4252
	s_cselect_b32 s21, s36, s60                                // 00000000EC48: 85153C24
	s_mov_b64 exec, s[20:21]                                   // 00000000EC4C: BEFE0114
	global_atomic_add_f32 v6, v102, s[8:9] offset:8            // 00000000EC50: DD348008 00086606
	global_atomic_add_f32 v6, v106, s[8:9] offset:264          // 00000000EC58: DD348108 00086A06
	s_mov_b64 exec, s[36:37]                                   // 00000000EC60: BEFE0124
	v_mov_b32_e32 v6, v69                                      // 00000000EC64: 7E0C0345
	s_mov_b64 s[60:61], 0                                      // 00000000EC68: BEBC0180
	v_readlane_b32 s82, v3, 10                                 // 00000000EC6C: D2890052 00011503
	s_and_b32 s82, s82, 0xffffff                               // 00000000EC74: 8652FF52 00FFFFFF
	s_cmp_lt_u32 s82, s66                                      // 00000000EC7C: BF0A4252
	s_cselect_b32 s20, s36, s60                                // 00000000EC80: 85143C24
	v_readlane_b32 s82, v3, 11                                 // 00000000EC84: D2890052 00011703
	s_and_b32 s82, s82, 0xffffff                               // 00000000EC8C: 8652FF52 00FFFFFF
	s_cmp_lt_u32 s82, s66                                      // 00000000EC94: BF0A4252
	s_cselect_b32 s21, s36, s60                                // 00000000EC98: 85153C24
	s_mov_b64 exec, s[20:21]                                   // 00000000EC9C: BEFE0114
	global_atomic_add_f32 v6, v103, s[8:9] offset:8            // 00000000ECA0: DD348008 00086706
	global_atomic_add_f32 v6, v107, s[8:9] offset:264          // 00000000ECA8: DD348108 00086B06
	s_mov_b64 exec, s[36:37]                                   // 00000000ECB0: BEFE0124
	v_mov_b32_e32 v6, v70                                      // 00000000ECB4: 7E0C0346
	s_mov_b64 s[60:61], 0                                      // 00000000ECB8: BEBC0180
	v_readlane_b32 s82, v3, 12                                 // 00000000ECBC: D2890052 00011903
	s_and_b32 s82, s82, 0xffffff                               // 00000000ECC4: 8652FF52 00FFFFFF
	s_cmp_lt_u32 s82, s66                                      // 00000000ECCC: BF0A4252
	s_cselect_b32 s20, s36, s60                                // 00000000ECD0: 85143C24
	v_readlane_b32 s82, v3, 13                                 // 00000000ECD4: D2890052 00011B03
	s_and_b32 s82, s82, 0xffffff                               // 00000000ECDC: 8652FF52 00FFFFFF
	s_cmp_lt_u32 s82, s66                                      // 00000000ECE4: BF0A4252
	s_cselect_b32 s21, s36, s60                                // 00000000ECE8: 85153C24
	s_mov_b64 exec, s[20:21]                                   // 00000000ECEC: BEFE0114
	global_atomic_add_f32 v6, v110, s[8:9] offset:8            // 00000000ECF0: DD348008 00086E06
	global_atomic_add_f32 v6, v114, s[8:9] offset:264          // 00000000ECF8: DD348108 00087206
	s_mov_b64 exec, s[36:37]                                   // 00000000ED00: BEFE0124
	v_mov_b32_e32 v6, v71                                      // 00000000ED04: 7E0C0347
	s_mov_b64 s[60:61], 0                                      // 00000000ED08: BEBC0180
	v_readlane_b32 s82, v3, 14                                 // 00000000ED0C: D2890052 00011D03
	s_and_b32 s82, s82, 0xffffff                               // 00000000ED14: 8652FF52 00FFFFFF
	s_cmp_lt_u32 s82, s66                                      // 00000000ED1C: BF0A4252
	s_cselect_b32 s20, s36, s60                                // 00000000ED20: 85143C24
	v_readlane_b32 s82, v3, 15                                 // 00000000ED24: D2890052 00011F03
	s_and_b32 s82, s82, 0xffffff                               // 00000000ED2C: 8652FF52 00FFFFFF
	s_cmp_lt_u32 s82, s66                                      // 00000000ED34: BF0A4252
	s_cselect_b32 s21, s36, s60                                // 00000000ED38: 85153C24
	s_mov_b64 exec, s[20:21]                                   // 00000000ED3C: BEFE0114
	global_atomic_add_f32 v6, v111, s[8:9] offset:8            // 00000000ED40: DD348008 00086F06
	global_atomic_add_f32 v6, v115, s[8:9] offset:264          // 00000000ED48: DD348108 00087306
	s_mov_b64 exec, s[36:37]                                   // 00000000ED50: BEFE0124
	v_mov_b32_e32 v6, v72                                      // 00000000ED54: 7E0C0348
	s_mov_b64 s[60:61], 0                                      // 00000000ED58: BEBC0180
	v_readlane_b32 s82, v3, 16                                 // 00000000ED5C: D2890052 00012103
	s_and_b32 s82, s82, 0xffffff                               // 00000000ED64: 8652FF52 00FFFFFF
	s_cmp_lt_u32 s82, s66                                      // 00000000ED6C: BF0A4252
	s_cselect_b32 s20, s36, s60                                // 00000000ED70: 85143C24
	v_readlane_b32 s82, v3, 17                                 // 00000000ED74: D2890052 00012303
	s_and_b32 s82, s82, 0xffffff                               // 00000000ED7C: 8652FF52 00FFFFFF
	s_cmp_lt_u32 s82, s66                                      // 00000000ED84: BF0A4252
	s_cselect_b32 s21, s36, s60                                // 00000000ED88: 85153C24
	s_mov_b64 exec, s[20:21]                                   // 00000000ED8C: BEFE0114
	global_atomic_add_f32 v6, v118, s[8:9] offset:8            // 00000000ED90: DD348008 00087606
	global_atomic_add_f32 v6, v122, s[8:9] offset:264          // 00000000ED98: DD348108 00087A06
	s_mov_b64 exec, s[36:37]                                   // 00000000EDA0: BEFE0124
	v_mov_b32_e32 v6, v73                                      // 00000000EDA4: 7E0C0349
	s_mov_b64 s[60:61], 0                                      // 00000000EDA8: BEBC0180
	v_readlane_b32 s82, v3, 18                                 // 00000000EDAC: D2890052 00012503
	s_and_b32 s82, s82, 0xffffff                               // 00000000EDB4: 8652FF52 00FFFFFF
	s_cmp_lt_u32 s82, s66                                      // 00000000EDBC: BF0A4252
	s_cselect_b32 s20, s36, s60                                // 00000000EDC0: 85143C24
	v_readlane_b32 s82, v3, 19                                 // 00000000EDC4: D2890052 00012703
	s_and_b32 s82, s82, 0xffffff                               // 00000000EDCC: 8652FF52 00FFFFFF
	s_cmp_lt_u32 s82, s66                                      // 00000000EDD4: BF0A4252
	s_cselect_b32 s21, s36, s60                                // 00000000EDD8: 85153C24
	s_mov_b64 exec, s[20:21]                                   // 00000000EDDC: BEFE0114
	global_atomic_add_f32 v6, v119, s[8:9] offset:8            // 00000000EDE0: DD348008 00087706
	global_atomic_add_f32 v6, v123, s[8:9] offset:264          // 00000000EDE8: DD348108 00087B06
	s_mov_b64 exec, s[36:37]                                   // 00000000EDF0: BEFE0124
	v_mov_b32_e32 v6, v74                                      // 00000000EDF4: 7E0C034A
	s_mov_b64 s[60:61], 0                                      // 00000000EDF8: BEBC0180
	v_readlane_b32 s82, v3, 20                                 // 00000000EDFC: D2890052 00012903
	s_and_b32 s82, s82, 0xffffff                               // 00000000EE04: 8652FF52 00FFFFFF
	s_cmp_lt_u32 s82, s66                                      // 00000000EE0C: BF0A4252
	s_cselect_b32 s20, s36, s60                                // 00000000EE10: 85143C24
	v_readlane_b32 s82, v3, 21                                 // 00000000EE14: D2890052 00012B03
	s_and_b32 s82, s82, 0xffffff                               // 00000000EE1C: 8652FF52 00FFFFFF
	s_cmp_lt_u32 s82, s66                                      // 00000000EE24: BF0A4252
	s_cselect_b32 s21, s36, s60                                // 00000000EE28: 85153C24
	s_mov_b64 exec, s[20:21]                                   // 00000000EE2C: BEFE0114
	global_atomic_add_f32 v6, v126, s[8:9] offset:8            // 00000000EE30: DD348008 00087E06
	global_atomic_add_f32 v6, v130, s[8:9] offset:264          // 00000000EE38: DD348108 00088206
	s_mov_b64 exec, s[36:37]                                   // 00000000EE40: BEFE0124
	v_mov_b32_e32 v6, v75                                      // 00000000EE44: 7E0C034B
	s_mov_b64 s[60:61], 0                                      // 00000000EE48: BEBC0180
	v_readlane_b32 s82, v3, 22                                 // 00000000EE4C: D2890052 00012D03
	s_and_b32 s82, s82, 0xffffff                               // 00000000EE54: 8652FF52 00FFFFFF
	s_cmp_lt_u32 s82, s66                                      // 00000000EE5C: BF0A4252
	s_cselect_b32 s20, s36, s60                                // 00000000EE60: 85143C24
	v_readlane_b32 s82, v3, 23                                 // 00000000EE64: D2890052 00012F03
	s_and_b32 s82, s82, 0xffffff                               // 00000000EE6C: 8652FF52 00FFFFFF
	s_cmp_lt_u32 s82, s66                                      // 00000000EE74: BF0A4252
	s_cselect_b32 s21, s36, s60                                // 00000000EE78: 85153C24
	s_mov_b64 exec, s[20:21]                                   // 00000000EE7C: BEFE0114
	global_atomic_add_f32 v6, v127, s[8:9] offset:8            // 00000000EE80: DD348008 00087F06
	global_atomic_add_f32 v6, v131, s[8:9] offset:264          // 00000000EE88: DD348108 00088306
	s_mov_b64 exec, s[36:37]                                   // 00000000EE90: BEFE0124
	v_mov_b32_e32 v6, v76                                      // 00000000EE94: 7E0C034C
	s_mov_b64 s[60:61], 0                                      // 00000000EE98: BEBC0180
	v_readlane_b32 s82, v3, 24                                 // 00000000EE9C: D2890052 00013103
	s_and_b32 s82, s82, 0xffffff                               // 00000000EEA4: 8652FF52 00FFFFFF
	s_cmp_lt_u32 s82, s66                                      // 00000000EEAC: BF0A4252
	s_cselect_b32 s20, s36, s60                                // 00000000EEB0: 85143C24
	v_readlane_b32 s82, v3, 25                                 // 00000000EEB4: D2890052 00013303
	s_and_b32 s82, s82, 0xffffff                               // 00000000EEBC: 8652FF52 00FFFFFF
	s_cmp_lt_u32 s82, s66                                      // 00000000EEC4: BF0A4252
	s_cselect_b32 s21, s36, s60                                // 00000000EEC8: 85153C24
	s_mov_b64 exec, s[20:21]                                   // 00000000EECC: BEFE0114
	global_atomic_add_f32 v6, v134, s[8:9] offset:8            // 00000000EED0: DD348008 00088606
	global_atomic_add_f32 v6, v138, s[8:9] offset:264          // 00000000EED8: DD348108 00088A06
	s_mov_b64 exec, s[36:37]                                   // 00000000EEE0: BEFE0124
	v_mov_b32_e32 v6, v77                                      // 00000000EEE4: 7E0C034D
	s_mov_b64 s[60:61], 0                                      // 00000000EEE8: BEBC0180
	v_readlane_b32 s82, v3, 26                                 // 00000000EEEC: D2890052 00013503
	s_and_b32 s82, s82, 0xffffff                               // 00000000EEF4: 8652FF52 00FFFFFF
	s_cmp_lt_u32 s82, s66                                      // 00000000EEFC: BF0A4252
	s_cselect_b32 s20, s36, s60                                // 00000000EF00: 85143C24
	v_readlane_b32 s82, v3, 27                                 // 00000000EF04: D2890052 00013703
	s_and_b32 s82, s82, 0xffffff                               // 00000000EF0C: 8652FF52 00FFFFFF
	s_cmp_lt_u32 s82, s66                                      // 00000000EF14: BF0A4252
	s_cselect_b32 s21, s36, s60                                // 00000000EF18: 85153C24
	s_mov_b64 exec, s[20:21]                                   // 00000000EF1C: BEFE0114
	global_atomic_add_f32 v6, v135, s[8:9] offset:8            // 00000000EF20: DD348008 00088706
	global_atomic_add_f32 v6, v139, s[8:9] offset:264          // 00000000EF28: DD348108 00088B06
	s_mov_b64 exec, s[36:37]                                   // 00000000EF30: BEFE0124
	v_mov_b32_e32 v6, v78                                      // 00000000EF34: 7E0C034E
	s_mov_b64 s[60:61], 0                                      // 00000000EF38: BEBC0180
	v_readlane_b32 s82, v3, 28                                 // 00000000EF3C: D2890052 00013903
	s_and_b32 s82, s82, 0xffffff                               // 00000000EF44: 8652FF52 00FFFFFF
	s_cmp_lt_u32 s82, s66                                      // 00000000EF4C: BF0A4252
	s_cselect_b32 s20, s36, s60                                // 00000000EF50: 85143C24
	v_readlane_b32 s82, v3, 29                                 // 00000000EF54: D2890052 00013B03
	s_and_b32 s82, s82, 0xffffff                               // 00000000EF5C: 8652FF52 00FFFFFF
	s_cmp_lt_u32 s82, s66                                      // 00000000EF64: BF0A4252
	s_cselect_b32 s21, s36, s60                                // 00000000EF68: 85153C24
	s_mov_b64 exec, s[20:21]                                   // 00000000EF6C: BEFE0114
	global_atomic_add_f32 v6, v142, s[8:9] offset:8            // 00000000EF70: DD348008 00088E06
	global_atomic_add_f32 v6, v146, s[8:9] offset:264          // 00000000EF78: DD348108 00089206
	s_mov_b64 exec, s[36:37]                                   // 00000000EF80: BEFE0124
	v_mov_b32_e32 v6, v79                                      // 00000000EF84: 7E0C034F
	s_mov_b64 s[60:61], 0                                      // 00000000EF88: BEBC0180
	v_readlane_b32 s82, v3, 30                                 // 00000000EF8C: D2890052 00013D03
	s_and_b32 s82, s82, 0xffffff                               // 00000000EF94: 8652FF52 00FFFFFF
	s_cmp_lt_u32 s82, s66                                      // 00000000EF9C: BF0A4252
	s_cselect_b32 s20, s36, s60                                // 00000000EFA0: 85143C24
	v_readlane_b32 s82, v3, 31                                 // 00000000EFA4: D2890052 00013F03
	s_and_b32 s82, s82, 0xffffff                               // 00000000EFAC: 8652FF52 00FFFFFF
	s_cmp_lt_u32 s82, s66                                      // 00000000EFB4: BF0A4252
	s_cselect_b32 s21, s36, s60                                // 00000000EFB8: 85153C24
	s_mov_b64 exec, s[20:21]                                   // 00000000EFBC: BEFE0114
	global_atomic_add_f32 v6, v143, s[8:9] offset:8            // 00000000EFC0: DD348008 00088F06
	global_atomic_add_f32 v6, v147, s[8:9] offset:264          // 00000000EFC8: DD348108 00089306
	s_mov_b64 exec, s[36:37]                                   // 00000000EFD0: BEFE0124
	v_mov_b32_e32 v6, v80                                      // 00000000EFD4: 7E0C0350
	s_mov_b64 s[60:61], 0                                      // 00000000EFD8: BEBC0180
	v_readlane_b32 s82, v3, 32                                 // 00000000EFDC: D2890052 00014103
	s_and_b32 s82, s82, 0xffffff                               // 00000000EFE4: 8652FF52 00FFFFFF
	s_cmp_lt_u32 s82, s66                                      // 00000000EFEC: BF0A4252
	s_cselect_b32 s20, s36, s60                                // 00000000EFF0: 85143C24
	v_readlane_b32 s82, v3, 33                                 // 00000000EFF4: D2890052 00014303
	s_and_b32 s82, s82, 0xffffff                               // 00000000EFFC: 8652FF52 00FFFFFF
	s_cmp_lt_u32 s82, s66                                      // 00000000F004: BF0A4252
	s_cselect_b32 s21, s36, s60                                // 00000000F008: 85153C24
	s_mov_b64 exec, s[20:21]                                   // 00000000F00C: BEFE0114
	global_atomic_add_f32 v6, v150, s[8:9] offset:8            // 00000000F010: DD348008 00089606
	global_atomic_add_f32 v6, v154, s[8:9] offset:264          // 00000000F018: DD348108 00089A06
	s_mov_b64 exec, s[36:37]                                   // 00000000F020: BEFE0124
	v_mov_b32_e32 v6, v81                                      // 00000000F024: 7E0C0351
	s_mov_b64 s[60:61], 0                                      // 00000000F028: BEBC0180
	v_readlane_b32 s82, v3, 34                                 // 00000000F02C: D2890052 00014503
	s_and_b32 s82, s82, 0xffffff                               // 00000000F034: 8652FF52 00FFFFFF
	s_cmp_lt_u32 s82, s66                                      // 00000000F03C: BF0A4252
	s_cselect_b32 s20, s36, s60                                // 00000000F040: 85143C24
	v_readlane_b32 s82, v3, 35                                 // 00000000F044: D2890052 00014703
	s_and_b32 s82, s82, 0xffffff                               // 00000000F04C: 8652FF52 00FFFFFF
	s_cmp_lt_u32 s82, s66                                      // 00000000F054: BF0A4252
	s_cselect_b32 s21, s36, s60                                // 00000000F058: 85153C24
	s_mov_b64 exec, s[20:21]                                   // 00000000F05C: BEFE0114
	global_atomic_add_f32 v6, v151, s[8:9] offset:8            // 00000000F060: DD348008 00089706
	global_atomic_add_f32 v6, v155, s[8:9] offset:264          // 00000000F068: DD348108 00089B06
	s_mov_b64 exec, s[36:37]                                   // 00000000F070: BEFE0124
	ds_write_b64 v20, v[156:157]                               // 00000000F074: D89A0000 00009C14
	ds_write_b64 v20, v[160:161] offset:4352                   // 00000000F07C: D89A1100 0000A014
	ds_write_b64 v20, v[164:165] offset:8704                   // 00000000F084: D89A2200 0000A414
	ds_write_b64 v20, v[168:169] offset:13056                  // 00000000F08C: D89A3300 0000A814
	ds_write_b64 v20, v[172:173] offset:17408                  // 00000000F094: D89A4400 0000AC14
	ds_write_b64 v20, v[176:177] offset:21760                  // 00000000F09C: D89A5500 0000B014
	ds_write_b64 v20, v[180:181] offset:26112                  // 00000000F0A4: D89A6600 0000B414
	ds_write_b64 v20, v[184:185] offset:30464                  // 00000000F0AC: D89A7700 0000B814
	ds_write_b64 v20, v[188:189] offset:34816                  // 00000000F0B4: D89A8800 0000BC14
	ds_write_b64 v20, v[192:193] offset:2176                   // 00000000F0BC: D89A0880 0000C014
	ds_write_b64 v20, v[196:197] offset:6528                   // 00000000F0C4: D89A1980 0000C414
	ds_write_b64 v20, v[200:201] offset:10880                  // 00000000F0CC: D89A2A80 0000C814
	ds_write_b64 v20, v[204:205] offset:15232                  // 00000000F0D4: D89A3B80 0000CC14
	ds_write_b64 v20, v[208:209] offset:19584                  // 00000000F0DC: D89A4C80 0000D014
	ds_write_b64 v20, v[212:213] offset:23936                  // 00000000F0E4: D89A5D80 0000D414
	ds_write_b64 v20, v[216:217] offset:28288                  // 00000000F0EC: D89A6E80 0000D814
	ds_write_b64 v20, v[220:221] offset:32640                  // 00000000F0F4: D89A7F80 0000DC14
	ds_write_b64 v20, v[224:225] offset:36992                  // 00000000F0FC: D89A9080 0000E014
	s_waitcnt lgkmcnt(0)                                       // 00000000F104: BF8CC07F
	s_barrier                                                  // 00000000F108: BF8A0000
	ds_read_b32 v156, v21                                      // 00000000F10C: D86C0000 9C000015
	ds_read_b32 v157, v21 offset:64                            // 00000000F114: D86C0040 9D000015
	ds_read_b32 v160, v21 offset:2176                          // 00000000F11C: D86C0880 A0000015
	ds_read_b32 v161, v21 offset:2240                          // 00000000F124: D86C08C0 A1000015
	ds_read_b32 v164, v21 offset:4352                          // 00000000F12C: D86C1100 A4000015
	ds_read_b32 v165, v21 offset:4416                          // 00000000F134: D86C1140 A5000015
	ds_read_b32 v168, v21 offset:6528                          // 00000000F13C: D86C1980 A8000015
	ds_read_b32 v169, v21 offset:6592                          // 00000000F144: D86C19C0 A9000015
	ds_read_b32 v172, v21 offset:8704                          // 00000000F14C: D86C2200 AC000015
	ds_read_b32 v173, v21 offset:8768                          // 00000000F154: D86C2240 AD000015
	ds_read_b32 v176, v21 offset:10880                         // 00000000F15C: D86C2A80 B0000015
	ds_read_b32 v177, v21 offset:10944                         // 00000000F164: D86C2AC0 B1000015
	ds_read_b32 v180, v21 offset:13056                         // 00000000F16C: D86C3300 B4000015
	ds_read_b32 v181, v21 offset:13120                         // 00000000F174: D86C3340 B5000015
	ds_read_b32 v184, v21 offset:15232                         // 00000000F17C: D86C3B80 B8000015
	ds_read_b32 v185, v21 offset:15296                         // 00000000F184: D86C3BC0 B9000015
	ds_read_b32 v188, v21 offset:17408                         // 00000000F18C: D86C4400 BC000015
	ds_read_b32 v189, v21 offset:17472                         // 00000000F194: D86C4440 BD000015
	ds_read_b32 v192, v21 offset:19584                         // 00000000F19C: D86C4C80 C0000015
	ds_read_b32 v193, v21 offset:19648                         // 00000000F1A4: D86C4CC0 C1000015
	ds_read_b32 v196, v21 offset:21760                         // 00000000F1AC: D86C5500 C4000015
	ds_read_b32 v197, v21 offset:21824                         // 00000000F1B4: D86C5540 C5000015
	ds_read_b32 v200, v21 offset:23936                         // 00000000F1BC: D86C5D80 C8000015
	ds_read_b32 v201, v21 offset:24000                         // 00000000F1C4: D86C5DC0 C9000015
	ds_read_b32 v204, v21 offset:26112                         // 00000000F1CC: D86C6600 CC000015
	ds_read_b32 v205, v21 offset:26176                         // 00000000F1D4: D86C6640 CD000015
	ds_read_b32 v208, v21 offset:28288                         // 00000000F1DC: D86C6E80 D0000015
	ds_read_b32 v209, v21 offset:28352                         // 00000000F1E4: D86C6EC0 D1000015
	ds_read_b32 v212, v21 offset:30464                         // 00000000F1EC: D86C7700 D4000015
	ds_read_b32 v213, v21 offset:30528                         // 00000000F1F4: D86C7740 D5000015
	ds_read_b32 v216, v21 offset:32640                         // 00000000F1FC: D86C7F80 D8000015
	ds_read_b32 v217, v21 offset:32704                         // 00000000F204: D86C7FC0 D9000015
	ds_read_b32 v220, v21 offset:34816                         // 00000000F20C: D86C8800 DC000015
	ds_read_b32 v221, v21 offset:34880                         // 00000000F214: D86C8840 DD000015
	ds_read_b32 v224, v21 offset:36992                         // 00000000F21C: D86C9080 E0000015
	ds_read_b32 v225, v21 offset:37056                         // 00000000F224: D86C90C0 E1000015
	s_mul_i32 s60, s65, 4                                      // 00000000F22C: 923C8441
	s_add_u32 s8, s60, s8                                      // 00000000F230: 8008083C
	s_addc_u32 s9, 0, s9                                       // 00000000F234: 82090980
	s_waitcnt lgkmcnt(0)                                       // 00000000F238: BF8CC07F
	v_mov_b32_e32 v7, 0                                        // 00000000F23C: 7E0E0280
	s_mov_b64 exec, s[36:37]                                   // 00000000F240: BEFE0124
	v_mov_b32_e32 v6, v64                                      // 00000000F244: 7E0C0340
	s_mov_b64 s[60:61], 0                                      // 00000000F248: BEBC0180
	v_readlane_b32 s82, v3, 0                                  // 00000000F24C: D2890052 00010103
	s_and_b32 s82, s82, 0xffffff                               // 00000000F254: 8652FF52 00FFFFFF
	s_cmp_lt_u32 s82, s66                                      // 00000000F25C: BF0A4252
	s_cselect_b32 s20, s36, s60                                // 00000000F260: 85143C24
	v_readlane_b32 s82, v3, 1                                  // 00000000F264: D2890052 00010303
	s_and_b32 s82, s82, 0xffffff                               // 00000000F26C: 8652FF52 00FFFFFF
	s_cmp_lt_u32 s82, s66                                      // 00000000F274: BF0A4252
	s_cselect_b32 s21, s36, s60                                // 00000000F278: 85153C24
	s_mov_b64 exec, s[20:21]                                   // 00000000F27C: BEFE0114
	global_atomic_add_f32 v6, v156, s[8:9]                     // 00000000F280: DD348000 00089C06
	global_atomic_add_f32 v6, v160, s[8:9] offset:256          // 00000000F288: DD348100 0008A006
	s_mov_b64 exec, s[36:37]                                   // 00000000F290: BEFE0124
	v_mov_b32_e32 v6, v65                                      // 00000000F294: 7E0C0341
	s_mov_b64 s[60:61], 0                                      // 00000000F298: BEBC0180
	v_readlane_b32 s82, v3, 2                                  // 00000000F29C: D2890052 00010503
	s_and_b32 s82, s82, 0xffffff                               // 00000000F2A4: 8652FF52 00FFFFFF
	s_cmp_lt_u32 s82, s66                                      // 00000000F2AC: BF0A4252
	s_cselect_b32 s20, s36, s60                                // 00000000F2B0: 85143C24
	v_readlane_b32 s82, v3, 3                                  // 00000000F2B4: D2890052 00010703
	s_and_b32 s82, s82, 0xffffff                               // 00000000F2BC: 8652FF52 00FFFFFF
	s_cmp_lt_u32 s82, s66                                      // 00000000F2C4: BF0A4252
	s_cselect_b32 s21, s36, s60                                // 00000000F2C8: 85153C24
	s_mov_b64 exec, s[20:21]                                   // 00000000F2CC: BEFE0114
	global_atomic_add_f32 v6, v157, s[8:9]                     // 00000000F2D0: DD348000 00089D06
	global_atomic_add_f32 v6, v161, s[8:9] offset:256          // 00000000F2D8: DD348100 0008A106
	s_mov_b64 exec, s[36:37]                                   // 00000000F2E0: BEFE0124
	v_mov_b32_e32 v6, v66                                      // 00000000F2E4: 7E0C0342
	s_mov_b64 s[60:61], 0                                      // 00000000F2E8: BEBC0180
	v_readlane_b32 s82, v3, 4                                  // 00000000F2EC: D2890052 00010903
	s_and_b32 s82, s82, 0xffffff                               // 00000000F2F4: 8652FF52 00FFFFFF
	s_cmp_lt_u32 s82, s66                                      // 00000000F2FC: BF0A4252
	s_cselect_b32 s20, s36, s60                                // 00000000F300: 85143C24
	v_readlane_b32 s82, v3, 5                                  // 00000000F304: D2890052 00010B03
	s_and_b32 s82, s82, 0xffffff                               // 00000000F30C: 8652FF52 00FFFFFF
	s_cmp_lt_u32 s82, s66                                      // 00000000F314: BF0A4252
	s_cselect_b32 s21, s36, s60                                // 00000000F318: 85153C24
	s_mov_b64 exec, s[20:21]                                   // 00000000F31C: BEFE0114
	global_atomic_add_f32 v6, v164, s[8:9]                     // 00000000F320: DD348000 0008A406
	global_atomic_add_f32 v6, v168, s[8:9] offset:256          // 00000000F328: DD348100 0008A806
	s_mov_b64 exec, s[36:37]                                   // 00000000F330: BEFE0124
	v_mov_b32_e32 v6, v67                                      // 00000000F334: 7E0C0343
	s_mov_b64 s[60:61], 0                                      // 00000000F338: BEBC0180
	v_readlane_b32 s82, v3, 6                                  // 00000000F33C: D2890052 00010D03
	s_and_b32 s82, s82, 0xffffff                               // 00000000F344: 8652FF52 00FFFFFF
	s_cmp_lt_u32 s82, s66                                      // 00000000F34C: BF0A4252
	s_cselect_b32 s20, s36, s60                                // 00000000F350: 85143C24
	v_readlane_b32 s82, v3, 7                                  // 00000000F354: D2890052 00010F03
	s_and_b32 s82, s82, 0xffffff                               // 00000000F35C: 8652FF52 00FFFFFF
	s_cmp_lt_u32 s82, s66                                      // 00000000F364: BF0A4252
	s_cselect_b32 s21, s36, s60                                // 00000000F368: 85153C24
	s_mov_b64 exec, s[20:21]                                   // 00000000F36C: BEFE0114
	global_atomic_add_f32 v6, v165, s[8:9]                     // 00000000F370: DD348000 0008A506
	global_atomic_add_f32 v6, v169, s[8:9] offset:256          // 00000000F378: DD348100 0008A906
	s_mov_b64 exec, s[36:37]                                   // 00000000F380: BEFE0124
	v_mov_b32_e32 v6, v68                                      // 00000000F384: 7E0C0344
	s_mov_b64 s[60:61], 0                                      // 00000000F388: BEBC0180
	v_readlane_b32 s82, v3, 8                                  // 00000000F38C: D2890052 00011103
	s_and_b32 s82, s82, 0xffffff                               // 00000000F394: 8652FF52 00FFFFFF
	s_cmp_lt_u32 s82, s66                                      // 00000000F39C: BF0A4252
	s_cselect_b32 s20, s36, s60                                // 00000000F3A0: 85143C24
	v_readlane_b32 s82, v3, 9                                  // 00000000F3A4: D2890052 00011303
	s_and_b32 s82, s82, 0xffffff                               // 00000000F3AC: 8652FF52 00FFFFFF
	s_cmp_lt_u32 s82, s66                                      // 00000000F3B4: BF0A4252
	s_cselect_b32 s21, s36, s60                                // 00000000F3B8: 85153C24
	s_mov_b64 exec, s[20:21]                                   // 00000000F3BC: BEFE0114
	global_atomic_add_f32 v6, v172, s[8:9]                     // 00000000F3C0: DD348000 0008AC06
	global_atomic_add_f32 v6, v176, s[8:9] offset:256          // 00000000F3C8: DD348100 0008B006
	s_mov_b64 exec, s[36:37]                                   // 00000000F3D0: BEFE0124
	v_mov_b32_e32 v6, v69                                      // 00000000F3D4: 7E0C0345
	s_mov_b64 s[60:61], 0                                      // 00000000F3D8: BEBC0180
	v_readlane_b32 s82, v3, 10                                 // 00000000F3DC: D2890052 00011503
	s_and_b32 s82, s82, 0xffffff                               // 00000000F3E4: 8652FF52 00FFFFFF
	s_cmp_lt_u32 s82, s66                                      // 00000000F3EC: BF0A4252
	s_cselect_b32 s20, s36, s60                                // 00000000F3F0: 85143C24
	v_readlane_b32 s82, v3, 11                                 // 00000000F3F4: D2890052 00011703
	s_and_b32 s82, s82, 0xffffff                               // 00000000F3FC: 8652FF52 00FFFFFF
	s_cmp_lt_u32 s82, s66                                      // 00000000F404: BF0A4252
	s_cselect_b32 s21, s36, s60                                // 00000000F408: 85153C24
	s_mov_b64 exec, s[20:21]                                   // 00000000F40C: BEFE0114
	global_atomic_add_f32 v6, v173, s[8:9]                     // 00000000F410: DD348000 0008AD06
	global_atomic_add_f32 v6, v177, s[8:9] offset:256          // 00000000F418: DD348100 0008B106
	s_mov_b64 exec, s[36:37]                                   // 00000000F420: BEFE0124
	v_mov_b32_e32 v6, v70                                      // 00000000F424: 7E0C0346
	s_mov_b64 s[60:61], 0                                      // 00000000F428: BEBC0180
	v_readlane_b32 s82, v3, 12                                 // 00000000F42C: D2890052 00011903
	s_and_b32 s82, s82, 0xffffff                               // 00000000F434: 8652FF52 00FFFFFF
	s_cmp_lt_u32 s82, s66                                      // 00000000F43C: BF0A4252
	s_cselect_b32 s20, s36, s60                                // 00000000F440: 85143C24
	v_readlane_b32 s82, v3, 13                                 // 00000000F444: D2890052 00011B03
	s_and_b32 s82, s82, 0xffffff                               // 00000000F44C: 8652FF52 00FFFFFF
	s_cmp_lt_u32 s82, s66                                      // 00000000F454: BF0A4252
	s_cselect_b32 s21, s36, s60                                // 00000000F458: 85153C24
	s_mov_b64 exec, s[20:21]                                   // 00000000F45C: BEFE0114
	global_atomic_add_f32 v6, v180, s[8:9]                     // 00000000F460: DD348000 0008B406
	global_atomic_add_f32 v6, v184, s[8:9] offset:256          // 00000000F468: DD348100 0008B806
	s_mov_b64 exec, s[36:37]                                   // 00000000F470: BEFE0124
	v_mov_b32_e32 v6, v71                                      // 00000000F474: 7E0C0347
	s_mov_b64 s[60:61], 0                                      // 00000000F478: BEBC0180
	v_readlane_b32 s82, v3, 14                                 // 00000000F47C: D2890052 00011D03
	s_and_b32 s82, s82, 0xffffff                               // 00000000F484: 8652FF52 00FFFFFF
	s_cmp_lt_u32 s82, s66                                      // 00000000F48C: BF0A4252
	s_cselect_b32 s20, s36, s60                                // 00000000F490: 85143C24
	v_readlane_b32 s82, v3, 15                                 // 00000000F494: D2890052 00011F03
	s_and_b32 s82, s82, 0xffffff                               // 00000000F49C: 8652FF52 00FFFFFF
	s_cmp_lt_u32 s82, s66                                      // 00000000F4A4: BF0A4252
	s_cselect_b32 s21, s36, s60                                // 00000000F4A8: 85153C24
	s_mov_b64 exec, s[20:21]                                   // 00000000F4AC: BEFE0114
	global_atomic_add_f32 v6, v181, s[8:9]                     // 00000000F4B0: DD348000 0008B506
	global_atomic_add_f32 v6, v185, s[8:9] offset:256          // 00000000F4B8: DD348100 0008B906
	s_mov_b64 exec, s[36:37]                                   // 00000000F4C0: BEFE0124
	v_mov_b32_e32 v6, v72                                      // 00000000F4C4: 7E0C0348
	s_mov_b64 s[60:61], 0                                      // 00000000F4C8: BEBC0180
	v_readlane_b32 s82, v3, 16                                 // 00000000F4CC: D2890052 00012103
	s_and_b32 s82, s82, 0xffffff                               // 00000000F4D4: 8652FF52 00FFFFFF
	s_cmp_lt_u32 s82, s66                                      // 00000000F4DC: BF0A4252
	s_cselect_b32 s20, s36, s60                                // 00000000F4E0: 85143C24
	v_readlane_b32 s82, v3, 17                                 // 00000000F4E4: D2890052 00012303
	s_and_b32 s82, s82, 0xffffff                               // 00000000F4EC: 8652FF52 00FFFFFF
	s_cmp_lt_u32 s82, s66                                      // 00000000F4F4: BF0A4252
	s_cselect_b32 s21, s36, s60                                // 00000000F4F8: 85153C24
	s_mov_b64 exec, s[20:21]                                   // 00000000F4FC: BEFE0114
	global_atomic_add_f32 v6, v188, s[8:9]                     // 00000000F500: DD348000 0008BC06
	global_atomic_add_f32 v6, v192, s[8:9] offset:256          // 00000000F508: DD348100 0008C006
	s_mov_b64 exec, s[36:37]                                   // 00000000F510: BEFE0124
	v_mov_b32_e32 v6, v73                                      // 00000000F514: 7E0C0349
	s_mov_b64 s[60:61], 0                                      // 00000000F518: BEBC0180
	v_readlane_b32 s82, v3, 18                                 // 00000000F51C: D2890052 00012503
	s_and_b32 s82, s82, 0xffffff                               // 00000000F524: 8652FF52 00FFFFFF
	s_cmp_lt_u32 s82, s66                                      // 00000000F52C: BF0A4252
	s_cselect_b32 s20, s36, s60                                // 00000000F530: 85143C24
	v_readlane_b32 s82, v3, 19                                 // 00000000F534: D2890052 00012703
	s_and_b32 s82, s82, 0xffffff                               // 00000000F53C: 8652FF52 00FFFFFF
	s_cmp_lt_u32 s82, s66                                      // 00000000F544: BF0A4252
	s_cselect_b32 s21, s36, s60                                // 00000000F548: 85153C24
	s_mov_b64 exec, s[20:21]                                   // 00000000F54C: BEFE0114
	global_atomic_add_f32 v6, v189, s[8:9]                     // 00000000F550: DD348000 0008BD06
	global_atomic_add_f32 v6, v193, s[8:9] offset:256          // 00000000F558: DD348100 0008C106
	s_mov_b64 exec, s[36:37]                                   // 00000000F560: BEFE0124
	v_mov_b32_e32 v6, v74                                      // 00000000F564: 7E0C034A
	s_mov_b64 s[60:61], 0                                      // 00000000F568: BEBC0180
	v_readlane_b32 s82, v3, 20                                 // 00000000F56C: D2890052 00012903
	s_and_b32 s82, s82, 0xffffff                               // 00000000F574: 8652FF52 00FFFFFF
	s_cmp_lt_u32 s82, s66                                      // 00000000F57C: BF0A4252
	s_cselect_b32 s20, s36, s60                                // 00000000F580: 85143C24
	v_readlane_b32 s82, v3, 21                                 // 00000000F584: D2890052 00012B03
	s_and_b32 s82, s82, 0xffffff                               // 00000000F58C: 8652FF52 00FFFFFF
	s_cmp_lt_u32 s82, s66                                      // 00000000F594: BF0A4252
	s_cselect_b32 s21, s36, s60                                // 00000000F598: 85153C24
	s_mov_b64 exec, s[20:21]                                   // 00000000F59C: BEFE0114
	global_atomic_add_f32 v6, v196, s[8:9]                     // 00000000F5A0: DD348000 0008C406
	global_atomic_add_f32 v6, v200, s[8:9] offset:256          // 00000000F5A8: DD348100 0008C806
	s_mov_b64 exec, s[36:37]                                   // 00000000F5B0: BEFE0124
	v_mov_b32_e32 v6, v75                                      // 00000000F5B4: 7E0C034B
	s_mov_b64 s[60:61], 0                                      // 00000000F5B8: BEBC0180
	v_readlane_b32 s82, v3, 22                                 // 00000000F5BC: D2890052 00012D03
	s_and_b32 s82, s82, 0xffffff                               // 00000000F5C4: 8652FF52 00FFFFFF
	s_cmp_lt_u32 s82, s66                                      // 00000000F5CC: BF0A4252
	s_cselect_b32 s20, s36, s60                                // 00000000F5D0: 85143C24
	v_readlane_b32 s82, v3, 23                                 // 00000000F5D4: D2890052 00012F03
	s_and_b32 s82, s82, 0xffffff                               // 00000000F5DC: 8652FF52 00FFFFFF
	s_cmp_lt_u32 s82, s66                                      // 00000000F5E4: BF0A4252
	s_cselect_b32 s21, s36, s60                                // 00000000F5E8: 85153C24
	s_mov_b64 exec, s[20:21]                                   // 00000000F5EC: BEFE0114
	global_atomic_add_f32 v6, v197, s[8:9]                     // 00000000F5F0: DD348000 0008C506
	global_atomic_add_f32 v6, v201, s[8:9] offset:256          // 00000000F5F8: DD348100 0008C906
	s_mov_b64 exec, s[36:37]                                   // 00000000F600: BEFE0124
	v_mov_b32_e32 v6, v76                                      // 00000000F604: 7E0C034C
	s_mov_b64 s[60:61], 0                                      // 00000000F608: BEBC0180
	v_readlane_b32 s82, v3, 24                                 // 00000000F60C: D2890052 00013103
	s_and_b32 s82, s82, 0xffffff                               // 00000000F614: 8652FF52 00FFFFFF
	s_cmp_lt_u32 s82, s66                                      // 00000000F61C: BF0A4252
	s_cselect_b32 s20, s36, s60                                // 00000000F620: 85143C24
	v_readlane_b32 s82, v3, 25                                 // 00000000F624: D2890052 00013303
	s_and_b32 s82, s82, 0xffffff                               // 00000000F62C: 8652FF52 00FFFFFF
	s_cmp_lt_u32 s82, s66                                      // 00000000F634: BF0A4252
	s_cselect_b32 s21, s36, s60                                // 00000000F638: 85153C24
	s_mov_b64 exec, s[20:21]                                   // 00000000F63C: BEFE0114
	global_atomic_add_f32 v6, v204, s[8:9]                     // 00000000F640: DD348000 0008CC06
	global_atomic_add_f32 v6, v208, s[8:9] offset:256          // 00000000F648: DD348100 0008D006
	s_mov_b64 exec, s[36:37]                                   // 00000000F650: BEFE0124
	v_mov_b32_e32 v6, v77                                      // 00000000F654: 7E0C034D
	s_mov_b64 s[60:61], 0                                      // 00000000F658: BEBC0180
	v_readlane_b32 s82, v3, 26                                 // 00000000F65C: D2890052 00013503
	s_and_b32 s82, s82, 0xffffff                               // 00000000F664: 8652FF52 00FFFFFF
	s_cmp_lt_u32 s82, s66                                      // 00000000F66C: BF0A4252
	s_cselect_b32 s20, s36, s60                                // 00000000F670: 85143C24
	v_readlane_b32 s82, v3, 27                                 // 00000000F674: D2890052 00013703
	s_and_b32 s82, s82, 0xffffff                               // 00000000F67C: 8652FF52 00FFFFFF
	s_cmp_lt_u32 s82, s66                                      // 00000000F684: BF0A4252
	s_cselect_b32 s21, s36, s60                                // 00000000F688: 85153C24
	s_mov_b64 exec, s[20:21]                                   // 00000000F68C: BEFE0114
	global_atomic_add_f32 v6, v205, s[8:9]                     // 00000000F690: DD348000 0008CD06
	global_atomic_add_f32 v6, v209, s[8:9] offset:256          // 00000000F698: DD348100 0008D106
	s_mov_b64 exec, s[36:37]                                   // 00000000F6A0: BEFE0124
	v_mov_b32_e32 v6, v78                                      // 00000000F6A4: 7E0C034E
	s_mov_b64 s[60:61], 0                                      // 00000000F6A8: BEBC0180
	v_readlane_b32 s82, v3, 28                                 // 00000000F6AC: D2890052 00013903
	s_and_b32 s82, s82, 0xffffff                               // 00000000F6B4: 8652FF52 00FFFFFF
	s_cmp_lt_u32 s82, s66                                      // 00000000F6BC: BF0A4252
	s_cselect_b32 s20, s36, s60                                // 00000000F6C0: 85143C24
	v_readlane_b32 s82, v3, 29                                 // 00000000F6C4: D2890052 00013B03
	s_and_b32 s82, s82, 0xffffff                               // 00000000F6CC: 8652FF52 00FFFFFF
	s_cmp_lt_u32 s82, s66                                      // 00000000F6D4: BF0A4252
	s_cselect_b32 s21, s36, s60                                // 00000000F6D8: 85153C24
	s_mov_b64 exec, s[20:21]                                   // 00000000F6DC: BEFE0114
	global_atomic_add_f32 v6, v212, s[8:9]                     // 00000000F6E0: DD348000 0008D406
	global_atomic_add_f32 v6, v216, s[8:9] offset:256          // 00000000F6E8: DD348100 0008D806
	s_mov_b64 exec, s[36:37]                                   // 00000000F6F0: BEFE0124
	v_mov_b32_e32 v6, v79                                      // 00000000F6F4: 7E0C034F
	s_mov_b64 s[60:61], 0                                      // 00000000F6F8: BEBC0180
	v_readlane_b32 s82, v3, 30                                 // 00000000F6FC: D2890052 00013D03
	s_and_b32 s82, s82, 0xffffff                               // 00000000F704: 8652FF52 00FFFFFF
	s_cmp_lt_u32 s82, s66                                      // 00000000F70C: BF0A4252
	s_cselect_b32 s20, s36, s60                                // 00000000F710: 85143C24
	v_readlane_b32 s82, v3, 31                                 // 00000000F714: D2890052 00013F03
	s_and_b32 s82, s82, 0xffffff                               // 00000000F71C: 8652FF52 00FFFFFF
	s_cmp_lt_u32 s82, s66                                      // 00000000F724: BF0A4252
	s_cselect_b32 s21, s36, s60                                // 00000000F728: 85153C24
	s_mov_b64 exec, s[20:21]                                   // 00000000F72C: BEFE0114
	global_atomic_add_f32 v6, v213, s[8:9]                     // 00000000F730: DD348000 0008D506
	global_atomic_add_f32 v6, v217, s[8:9] offset:256          // 00000000F738: DD348100 0008D906
	s_mov_b64 exec, s[36:37]                                   // 00000000F740: BEFE0124
	v_mov_b32_e32 v6, v80                                      // 00000000F744: 7E0C0350
	s_mov_b64 s[60:61], 0                                      // 00000000F748: BEBC0180
	v_readlane_b32 s82, v3, 32                                 // 00000000F74C: D2890052 00014103
	s_and_b32 s82, s82, 0xffffff                               // 00000000F754: 8652FF52 00FFFFFF
	s_cmp_lt_u32 s82, s66                                      // 00000000F75C: BF0A4252
	s_cselect_b32 s20, s36, s60                                // 00000000F760: 85143C24
	v_readlane_b32 s82, v3, 33                                 // 00000000F764: D2890052 00014303
	s_and_b32 s82, s82, 0xffffff                               // 00000000F76C: 8652FF52 00FFFFFF
	s_cmp_lt_u32 s82, s66                                      // 00000000F774: BF0A4252
	s_cselect_b32 s21, s36, s60                                // 00000000F778: 85153C24
	s_mov_b64 exec, s[20:21]                                   // 00000000F77C: BEFE0114
	global_atomic_add_f32 v6, v220, s[8:9]                     // 00000000F780: DD348000 0008DC06
	global_atomic_add_f32 v6, v224, s[8:9] offset:256          // 00000000F788: DD348100 0008E006
	s_mov_b64 exec, s[36:37]                                   // 00000000F790: BEFE0124
	v_mov_b32_e32 v6, v81                                      // 00000000F794: 7E0C0351
	s_mov_b64 s[60:61], 0                                      // 00000000F798: BEBC0180
	v_readlane_b32 s82, v3, 34                                 // 00000000F79C: D2890052 00014503
	s_and_b32 s82, s82, 0xffffff                               // 00000000F7A4: 8652FF52 00FFFFFF
	s_cmp_lt_u32 s82, s66                                      // 00000000F7AC: BF0A4252
	s_cselect_b32 s20, s36, s60                                // 00000000F7B0: 85143C24
	v_readlane_b32 s82, v3, 35                                 // 00000000F7B4: D2890052 00014703
	s_and_b32 s82, s82, 0xffffff                               // 00000000F7BC: 8652FF52 00FFFFFF
	s_cmp_lt_u32 s82, s66                                      // 00000000F7C4: BF0A4252
	s_cselect_b32 s21, s36, s60                                // 00000000F7C8: 85153C24
	s_mov_b64 exec, s[20:21]                                   // 00000000F7CC: BEFE0114
	global_atomic_add_f32 v6, v221, s[8:9]                     // 00000000F7D0: DD348000 0008DD06
	global_atomic_add_f32 v6, v225, s[8:9] offset:256          // 00000000F7D8: DD348100 0008E106
	s_mov_b64 exec, s[36:37]                                   // 00000000F7E0: BEFE0124
	ds_write_b64 v20, v[158:159]                               // 00000000F7E4: D89A0000 00009E14
	ds_write_b64 v20, v[162:163] offset:4352                   // 00000000F7EC: D89A1100 0000A214
	ds_write_b64 v20, v[166:167] offset:8704                   // 00000000F7F4: D89A2200 0000A614
	ds_write_b64 v20, v[170:171] offset:13056                  // 00000000F7FC: D89A3300 0000AA14
	ds_write_b64 v20, v[174:175] offset:17408                  // 00000000F804: D89A4400 0000AE14
	ds_write_b64 v20, v[178:179] offset:21760                  // 00000000F80C: D89A5500 0000B214
	ds_write_b64 v20, v[182:183] offset:26112                  // 00000000F814: D89A6600 0000B614
	ds_write_b64 v20, v[186:187] offset:30464                  // 00000000F81C: D89A7700 0000BA14
	ds_write_b64 v20, v[190:191] offset:34816                  // 00000000F824: D89A8800 0000BE14
	ds_write_b64 v20, v[194:195] offset:2176                   // 00000000F82C: D89A0880 0000C214
	ds_write_b64 v20, v[198:199] offset:6528                   // 00000000F834: D89A1980 0000C614
	ds_write_b64 v20, v[202:203] offset:10880                  // 00000000F83C: D89A2A80 0000CA14
	ds_write_b64 v20, v[206:207] offset:15232                  // 00000000F844: D89A3B80 0000CE14
	ds_write_b64 v20, v[210:211] offset:19584                  // 00000000F84C: D89A4C80 0000D214
	ds_write_b64 v20, v[214:215] offset:23936                  // 00000000F854: D89A5D80 0000D614
	ds_write_b64 v20, v[218:219] offset:28288                  // 00000000F85C: D89A6E80 0000DA14
	ds_write_b64 v20, v[222:223] offset:32640                  // 00000000F864: D89A7F80 0000DE14
	ds_write_b64 v20, v[226:227] offset:36992                  // 00000000F86C: D89A9080 0000E214
	s_waitcnt lgkmcnt(0)                                       // 00000000F874: BF8CC07F
	s_barrier                                                  // 00000000F878: BF8A0000
	ds_read_b32 v158, v21                                      // 00000000F87C: D86C0000 9E000015
	ds_read_b32 v159, v21 offset:64                            // 00000000F884: D86C0040 9F000015
	ds_read_b32 v162, v21 offset:2176                          // 00000000F88C: D86C0880 A2000015
	ds_read_b32 v163, v21 offset:2240                          // 00000000F894: D86C08C0 A3000015
	ds_read_b32 v166, v21 offset:4352                          // 00000000F89C: D86C1100 A6000015
	ds_read_b32 v167, v21 offset:4416                          // 00000000F8A4: D86C1140 A7000015
	ds_read_b32 v170, v21 offset:6528                          // 00000000F8AC: D86C1980 AA000015
	ds_read_b32 v171, v21 offset:6592                          // 00000000F8B4: D86C19C0 AB000015
	ds_read_b32 v174, v21 offset:8704                          // 00000000F8BC: D86C2200 AE000015
	ds_read_b32 v175, v21 offset:8768                          // 00000000F8C4: D86C2240 AF000015
	ds_read_b32 v178, v21 offset:10880                         // 00000000F8CC: D86C2A80 B2000015
	ds_read_b32 v179, v21 offset:10944                         // 00000000F8D4: D86C2AC0 B3000015
	ds_read_b32 v182, v21 offset:13056                         // 00000000F8DC: D86C3300 B6000015
	ds_read_b32 v183, v21 offset:13120                         // 00000000F8E4: D86C3340 B7000015
	ds_read_b32 v186, v21 offset:15232                         // 00000000F8EC: D86C3B80 BA000015
	ds_read_b32 v187, v21 offset:15296                         // 00000000F8F4: D86C3BC0 BB000015
	ds_read_b32 v190, v21 offset:17408                         // 00000000F8FC: D86C4400 BE000015
	ds_read_b32 v191, v21 offset:17472                         // 00000000F904: D86C4440 BF000015
	ds_read_b32 v194, v21 offset:19584                         // 00000000F90C: D86C4C80 C2000015
	ds_read_b32 v195, v21 offset:19648                         // 00000000F914: D86C4CC0 C3000015
	ds_read_b32 v198, v21 offset:21760                         // 00000000F91C: D86C5500 C6000015
	ds_read_b32 v199, v21 offset:21824                         // 00000000F924: D86C5540 C7000015
	ds_read_b32 v202, v21 offset:23936                         // 00000000F92C: D86C5D80 CA000015
	ds_read_b32 v203, v21 offset:24000                         // 00000000F934: D86C5DC0 CB000015
	ds_read_b32 v206, v21 offset:26112                         // 00000000F93C: D86C6600 CE000015
	ds_read_b32 v207, v21 offset:26176                         // 00000000F944: D86C6640 CF000015
	ds_read_b32 v210, v21 offset:28288                         // 00000000F94C: D86C6E80 D2000015
	ds_read_b32 v211, v21 offset:28352                         // 00000000F954: D86C6EC0 D3000015
	ds_read_b32 v214, v21 offset:30464                         // 00000000F95C: D86C7700 D6000015
	ds_read_b32 v215, v21 offset:30528                         // 00000000F964: D86C7740 D7000015
	ds_read_b32 v218, v21 offset:32640                         // 00000000F96C: D86C7F80 DA000015
	ds_read_b32 v219, v21 offset:32704                         // 00000000F974: D86C7FC0 DB000015
	ds_read_b32 v222, v21 offset:34816                         // 00000000F97C: D86C8800 DE000015
	ds_read_b32 v223, v21 offset:34880                         // 00000000F984: D86C8840 DF000015
	ds_read_b32 v226, v21 offset:36992                         // 00000000F98C: D86C9080 E2000015
	ds_read_b32 v227, v21 offset:37056                         // 00000000F994: D86C90C0 E3000015
	s_waitcnt lgkmcnt(0)                                       // 00000000F99C: BF8CC07F
	v_mov_b32_e32 v7, 0                                        // 00000000F9A0: 7E0E0280
	s_mov_b64 exec, s[36:37]                                   // 00000000F9A4: BEFE0124
	v_mov_b32_e32 v6, v64                                      // 00000000F9A8: 7E0C0340
	s_mov_b64 s[60:61], 0                                      // 00000000F9AC: BEBC0180
	v_readlane_b32 s82, v3, 0                                  // 00000000F9B0: D2890052 00010103
	s_and_b32 s82, s82, 0xffffff                               // 00000000F9B8: 8652FF52 00FFFFFF
	s_cmp_lt_u32 s82, s66                                      // 00000000F9C0: BF0A4252
	s_cselect_b32 s20, s36, s60                                // 00000000F9C4: 85143C24
	v_readlane_b32 s82, v3, 1                                  // 00000000F9C8: D2890052 00010303
	s_and_b32 s82, s82, 0xffffff                               // 00000000F9D0: 8652FF52 00FFFFFF
	s_cmp_lt_u32 s82, s66                                      // 00000000F9D8: BF0A4252
	s_cselect_b32 s21, s36, s60                                // 00000000F9DC: 85153C24
	s_mov_b64 exec, s[20:21]                                   // 00000000F9E0: BEFE0114
	global_atomic_add_f32 v6, v158, s[8:9] offset:8            // 00000000F9E4: DD348008 00089E06
	global_atomic_add_f32 v6, v162, s[8:9] offset:264          // 00000000F9EC: DD348108 0008A206
	s_mov_b64 exec, s[36:37]                                   // 00000000F9F4: BEFE0124
	v_mov_b32_e32 v6, v65                                      // 00000000F9F8: 7E0C0341
	s_mov_b64 s[60:61], 0                                      // 00000000F9FC: BEBC0180
	v_readlane_b32 s82, v3, 2                                  // 00000000FA00: D2890052 00010503
	s_and_b32 s82, s82, 0xffffff                               // 00000000FA08: 8652FF52 00FFFFFF
	s_cmp_lt_u32 s82, s66                                      // 00000000FA10: BF0A4252
	s_cselect_b32 s20, s36, s60                                // 00000000FA14: 85143C24
	v_readlane_b32 s82, v3, 3                                  // 00000000FA18: D2890052 00010703
	s_and_b32 s82, s82, 0xffffff                               // 00000000FA20: 8652FF52 00FFFFFF
	s_cmp_lt_u32 s82, s66                                      // 00000000FA28: BF0A4252
	s_cselect_b32 s21, s36, s60                                // 00000000FA2C: 85153C24
	s_mov_b64 exec, s[20:21]                                   // 00000000FA30: BEFE0114
	global_atomic_add_f32 v6, v159, s[8:9] offset:8            // 00000000FA34: DD348008 00089F06
	global_atomic_add_f32 v6, v163, s[8:9] offset:264          // 00000000FA3C: DD348108 0008A306
	s_mov_b64 exec, s[36:37]                                   // 00000000FA44: BEFE0124
	v_mov_b32_e32 v6, v66                                      // 00000000FA48: 7E0C0342
	s_mov_b64 s[60:61], 0                                      // 00000000FA4C: BEBC0180
	v_readlane_b32 s82, v3, 4                                  // 00000000FA50: D2890052 00010903
	s_and_b32 s82, s82, 0xffffff                               // 00000000FA58: 8652FF52 00FFFFFF
	s_cmp_lt_u32 s82, s66                                      // 00000000FA60: BF0A4252
	s_cselect_b32 s20, s36, s60                                // 00000000FA64: 85143C24
	v_readlane_b32 s82, v3, 5                                  // 00000000FA68: D2890052 00010B03
	s_and_b32 s82, s82, 0xffffff                               // 00000000FA70: 8652FF52 00FFFFFF
	s_cmp_lt_u32 s82, s66                                      // 00000000FA78: BF0A4252
	s_cselect_b32 s21, s36, s60                                // 00000000FA7C: 85153C24
	s_mov_b64 exec, s[20:21]                                   // 00000000FA80: BEFE0114
	global_atomic_add_f32 v6, v166, s[8:9] offset:8            // 00000000FA84: DD348008 0008A606
	global_atomic_add_f32 v6, v170, s[8:9] offset:264          // 00000000FA8C: DD348108 0008AA06
	s_mov_b64 exec, s[36:37]                                   // 00000000FA94: BEFE0124
	v_mov_b32_e32 v6, v67                                      // 00000000FA98: 7E0C0343
	s_mov_b64 s[60:61], 0                                      // 00000000FA9C: BEBC0180
	v_readlane_b32 s82, v3, 6                                  // 00000000FAA0: D2890052 00010D03
	s_and_b32 s82, s82, 0xffffff                               // 00000000FAA8: 8652FF52 00FFFFFF
	s_cmp_lt_u32 s82, s66                                      // 00000000FAB0: BF0A4252
	s_cselect_b32 s20, s36, s60                                // 00000000FAB4: 85143C24
	v_readlane_b32 s82, v3, 7                                  // 00000000FAB8: D2890052 00010F03
	s_and_b32 s82, s82, 0xffffff                               // 00000000FAC0: 8652FF52 00FFFFFF
	s_cmp_lt_u32 s82, s66                                      // 00000000FAC8: BF0A4252
	s_cselect_b32 s21, s36, s60                                // 00000000FACC: 85153C24
	s_mov_b64 exec, s[20:21]                                   // 00000000FAD0: BEFE0114
	global_atomic_add_f32 v6, v167, s[8:9] offset:8            // 00000000FAD4: DD348008 0008A706
	global_atomic_add_f32 v6, v171, s[8:9] offset:264          // 00000000FADC: DD348108 0008AB06
	s_mov_b64 exec, s[36:37]                                   // 00000000FAE4: BEFE0124
	v_mov_b32_e32 v6, v68                                      // 00000000FAE8: 7E0C0344
	s_mov_b64 s[60:61], 0                                      // 00000000FAEC: BEBC0180
	v_readlane_b32 s82, v3, 8                                  // 00000000FAF0: D2890052 00011103
	s_and_b32 s82, s82, 0xffffff                               // 00000000FAF8: 8652FF52 00FFFFFF
	s_cmp_lt_u32 s82, s66                                      // 00000000FB00: BF0A4252
	s_cselect_b32 s20, s36, s60                                // 00000000FB04: 85143C24
	v_readlane_b32 s82, v3, 9                                  // 00000000FB08: D2890052 00011303
	s_and_b32 s82, s82, 0xffffff                               // 00000000FB10: 8652FF52 00FFFFFF
	s_cmp_lt_u32 s82, s66                                      // 00000000FB18: BF0A4252
	s_cselect_b32 s21, s36, s60                                // 00000000FB1C: 85153C24
	s_mov_b64 exec, s[20:21]                                   // 00000000FB20: BEFE0114
	global_atomic_add_f32 v6, v174, s[8:9] offset:8            // 00000000FB24: DD348008 0008AE06
	global_atomic_add_f32 v6, v178, s[8:9] offset:264          // 00000000FB2C: DD348108 0008B206
	s_mov_b64 exec, s[36:37]                                   // 00000000FB34: BEFE0124
	v_mov_b32_e32 v6, v69                                      // 00000000FB38: 7E0C0345
	s_mov_b64 s[60:61], 0                                      // 00000000FB3C: BEBC0180
	v_readlane_b32 s82, v3, 10                                 // 00000000FB40: D2890052 00011503
	s_and_b32 s82, s82, 0xffffff                               // 00000000FB48: 8652FF52 00FFFFFF
	s_cmp_lt_u32 s82, s66                                      // 00000000FB50: BF0A4252
	s_cselect_b32 s20, s36, s60                                // 00000000FB54: 85143C24
	v_readlane_b32 s82, v3, 11                                 // 00000000FB58: D2890052 00011703
	s_and_b32 s82, s82, 0xffffff                               // 00000000FB60: 8652FF52 00FFFFFF
	s_cmp_lt_u32 s82, s66                                      // 00000000FB68: BF0A4252
	s_cselect_b32 s21, s36, s60                                // 00000000FB6C: 85153C24
	s_mov_b64 exec, s[20:21]                                   // 00000000FB70: BEFE0114
	global_atomic_add_f32 v6, v175, s[8:9] offset:8            // 00000000FB74: DD348008 0008AF06
	global_atomic_add_f32 v6, v179, s[8:9] offset:264          // 00000000FB7C: DD348108 0008B306
	s_mov_b64 exec, s[36:37]                                   // 00000000FB84: BEFE0124
	v_mov_b32_e32 v6, v70                                      // 00000000FB88: 7E0C0346
	s_mov_b64 s[60:61], 0                                      // 00000000FB8C: BEBC0180
	v_readlane_b32 s82, v3, 12                                 // 00000000FB90: D2890052 00011903
	s_and_b32 s82, s82, 0xffffff                               // 00000000FB98: 8652FF52 00FFFFFF
	s_cmp_lt_u32 s82, s66                                      // 00000000FBA0: BF0A4252
	s_cselect_b32 s20, s36, s60                                // 00000000FBA4: 85143C24
	v_readlane_b32 s82, v3, 13                                 // 00000000FBA8: D2890052 00011B03
	s_and_b32 s82, s82, 0xffffff                               // 00000000FBB0: 8652FF52 00FFFFFF
	s_cmp_lt_u32 s82, s66                                      // 00000000FBB8: BF0A4252
	s_cselect_b32 s21, s36, s60                                // 00000000FBBC: 85153C24
	s_mov_b64 exec, s[20:21]                                   // 00000000FBC0: BEFE0114
	global_atomic_add_f32 v6, v182, s[8:9] offset:8            // 00000000FBC4: DD348008 0008B606
	global_atomic_add_f32 v6, v186, s[8:9] offset:264          // 00000000FBCC: DD348108 0008BA06
	s_mov_b64 exec, s[36:37]                                   // 00000000FBD4: BEFE0124
	v_mov_b32_e32 v6, v71                                      // 00000000FBD8: 7E0C0347
	s_mov_b64 s[60:61], 0                                      // 00000000FBDC: BEBC0180
	v_readlane_b32 s82, v3, 14                                 // 00000000FBE0: D2890052 00011D03
	s_and_b32 s82, s82, 0xffffff                               // 00000000FBE8: 8652FF52 00FFFFFF
	s_cmp_lt_u32 s82, s66                                      // 00000000FBF0: BF0A4252
	s_cselect_b32 s20, s36, s60                                // 00000000FBF4: 85143C24
	v_readlane_b32 s82, v3, 15                                 // 00000000FBF8: D2890052 00011F03
	s_and_b32 s82, s82, 0xffffff                               // 00000000FC00: 8652FF52 00FFFFFF
	s_cmp_lt_u32 s82, s66                                      // 00000000FC08: BF0A4252
	s_cselect_b32 s21, s36, s60                                // 00000000FC0C: 85153C24
	s_mov_b64 exec, s[20:21]                                   // 00000000FC10: BEFE0114
	global_atomic_add_f32 v6, v183, s[8:9] offset:8            // 00000000FC14: DD348008 0008B706
	global_atomic_add_f32 v6, v187, s[8:9] offset:264          // 00000000FC1C: DD348108 0008BB06
	s_mov_b64 exec, s[36:37]                                   // 00000000FC24: BEFE0124
	v_mov_b32_e32 v6, v72                                      // 00000000FC28: 7E0C0348
	s_mov_b64 s[60:61], 0                                      // 00000000FC2C: BEBC0180
	v_readlane_b32 s82, v3, 16                                 // 00000000FC30: D2890052 00012103
	s_and_b32 s82, s82, 0xffffff                               // 00000000FC38: 8652FF52 00FFFFFF
	s_cmp_lt_u32 s82, s66                                      // 00000000FC40: BF0A4252
	s_cselect_b32 s20, s36, s60                                // 00000000FC44: 85143C24
	v_readlane_b32 s82, v3, 17                                 // 00000000FC48: D2890052 00012303
	s_and_b32 s82, s82, 0xffffff                               // 00000000FC50: 8652FF52 00FFFFFF
	s_cmp_lt_u32 s82, s66                                      // 00000000FC58: BF0A4252
	s_cselect_b32 s21, s36, s60                                // 00000000FC5C: 85153C24
	s_mov_b64 exec, s[20:21]                                   // 00000000FC60: BEFE0114
	global_atomic_add_f32 v6, v190, s[8:9] offset:8            // 00000000FC64: DD348008 0008BE06
	global_atomic_add_f32 v6, v194, s[8:9] offset:264          // 00000000FC6C: DD348108 0008C206
	s_mov_b64 exec, s[36:37]                                   // 00000000FC74: BEFE0124
	v_mov_b32_e32 v6, v73                                      // 00000000FC78: 7E0C0349
	s_mov_b64 s[60:61], 0                                      // 00000000FC7C: BEBC0180
	v_readlane_b32 s82, v3, 18                                 // 00000000FC80: D2890052 00012503
	s_and_b32 s82, s82, 0xffffff                               // 00000000FC88: 8652FF52 00FFFFFF
	s_cmp_lt_u32 s82, s66                                      // 00000000FC90: BF0A4252
	s_cselect_b32 s20, s36, s60                                // 00000000FC94: 85143C24
	v_readlane_b32 s82, v3, 19                                 // 00000000FC98: D2890052 00012703
	s_and_b32 s82, s82, 0xffffff                               // 00000000FCA0: 8652FF52 00FFFFFF
	s_cmp_lt_u32 s82, s66                                      // 00000000FCA8: BF0A4252
	s_cselect_b32 s21, s36, s60                                // 00000000FCAC: 85153C24
	s_mov_b64 exec, s[20:21]                                   // 00000000FCB0: BEFE0114
	global_atomic_add_f32 v6, v191, s[8:9] offset:8            // 00000000FCB4: DD348008 0008BF06
	global_atomic_add_f32 v6, v195, s[8:9] offset:264          // 00000000FCBC: DD348108 0008C306
	s_mov_b64 exec, s[36:37]                                   // 00000000FCC4: BEFE0124
	v_mov_b32_e32 v6, v74                                      // 00000000FCC8: 7E0C034A
	s_mov_b64 s[60:61], 0                                      // 00000000FCCC: BEBC0180
	v_readlane_b32 s82, v3, 20                                 // 00000000FCD0: D2890052 00012903
	s_and_b32 s82, s82, 0xffffff                               // 00000000FCD8: 8652FF52 00FFFFFF
	s_cmp_lt_u32 s82, s66                                      // 00000000FCE0: BF0A4252
	s_cselect_b32 s20, s36, s60                                // 00000000FCE4: 85143C24
	v_readlane_b32 s82, v3, 21                                 // 00000000FCE8: D2890052 00012B03
	s_and_b32 s82, s82, 0xffffff                               // 00000000FCF0: 8652FF52 00FFFFFF
	s_cmp_lt_u32 s82, s66                                      // 00000000FCF8: BF0A4252
	s_cselect_b32 s21, s36, s60                                // 00000000FCFC: 85153C24
	s_mov_b64 exec, s[20:21]                                   // 00000000FD00: BEFE0114
	global_atomic_add_f32 v6, v198, s[8:9] offset:8            // 00000000FD04: DD348008 0008C606
	global_atomic_add_f32 v6, v202, s[8:9] offset:264          // 00000000FD0C: DD348108 0008CA06
	s_mov_b64 exec, s[36:37]                                   // 00000000FD14: BEFE0124
	v_mov_b32_e32 v6, v75                                      // 00000000FD18: 7E0C034B
	s_mov_b64 s[60:61], 0                                      // 00000000FD1C: BEBC0180
	v_readlane_b32 s82, v3, 22                                 // 00000000FD20: D2890052 00012D03
	s_and_b32 s82, s82, 0xffffff                               // 00000000FD28: 8652FF52 00FFFFFF
	s_cmp_lt_u32 s82, s66                                      // 00000000FD30: BF0A4252
	s_cselect_b32 s20, s36, s60                                // 00000000FD34: 85143C24
	v_readlane_b32 s82, v3, 23                                 // 00000000FD38: D2890052 00012F03
	s_and_b32 s82, s82, 0xffffff                               // 00000000FD40: 8652FF52 00FFFFFF
	s_cmp_lt_u32 s82, s66                                      // 00000000FD48: BF0A4252
	s_cselect_b32 s21, s36, s60                                // 00000000FD4C: 85153C24
	s_mov_b64 exec, s[20:21]                                   // 00000000FD50: BEFE0114
	global_atomic_add_f32 v6, v199, s[8:9] offset:8            // 00000000FD54: DD348008 0008C706
	global_atomic_add_f32 v6, v203, s[8:9] offset:264          // 00000000FD5C: DD348108 0008CB06
	s_mov_b64 exec, s[36:37]                                   // 00000000FD64: BEFE0124
	v_mov_b32_e32 v6, v76                                      // 00000000FD68: 7E0C034C
	s_mov_b64 s[60:61], 0                                      // 00000000FD6C: BEBC0180
	v_readlane_b32 s82, v3, 24                                 // 00000000FD70: D2890052 00013103
	s_and_b32 s82, s82, 0xffffff                               // 00000000FD78: 8652FF52 00FFFFFF
	s_cmp_lt_u32 s82, s66                                      // 00000000FD80: BF0A4252
	s_cselect_b32 s20, s36, s60                                // 00000000FD84: 85143C24
	v_readlane_b32 s82, v3, 25                                 // 00000000FD88: D2890052 00013303
	s_and_b32 s82, s82, 0xffffff                               // 00000000FD90: 8652FF52 00FFFFFF
	s_cmp_lt_u32 s82, s66                                      // 00000000FD98: BF0A4252
	s_cselect_b32 s21, s36, s60                                // 00000000FD9C: 85153C24
	s_mov_b64 exec, s[20:21]                                   // 00000000FDA0: BEFE0114
	global_atomic_add_f32 v6, v206, s[8:9] offset:8            // 00000000FDA4: DD348008 0008CE06
	global_atomic_add_f32 v6, v210, s[8:9] offset:264          // 00000000FDAC: DD348108 0008D206
	s_mov_b64 exec, s[36:37]                                   // 00000000FDB4: BEFE0124
	v_mov_b32_e32 v6, v77                                      // 00000000FDB8: 7E0C034D
	s_mov_b64 s[60:61], 0                                      // 00000000FDBC: BEBC0180
	v_readlane_b32 s82, v3, 26                                 // 00000000FDC0: D2890052 00013503
	s_and_b32 s82, s82, 0xffffff                               // 00000000FDC8: 8652FF52 00FFFFFF
	s_cmp_lt_u32 s82, s66                                      // 00000000FDD0: BF0A4252
	s_cselect_b32 s20, s36, s60                                // 00000000FDD4: 85143C24
	v_readlane_b32 s82, v3, 27                                 // 00000000FDD8: D2890052 00013703
	s_and_b32 s82, s82, 0xffffff                               // 00000000FDE0: 8652FF52 00FFFFFF
	s_cmp_lt_u32 s82, s66                                      // 00000000FDE8: BF0A4252
	s_cselect_b32 s21, s36, s60                                // 00000000FDEC: 85153C24
	s_mov_b64 exec, s[20:21]                                   // 00000000FDF0: BEFE0114
	global_atomic_add_f32 v6, v207, s[8:9] offset:8            // 00000000FDF4: DD348008 0008CF06
	global_atomic_add_f32 v6, v211, s[8:9] offset:264          // 00000000FDFC: DD348108 0008D306
	s_mov_b64 exec, s[36:37]                                   // 00000000FE04: BEFE0124
	v_mov_b32_e32 v6, v78                                      // 00000000FE08: 7E0C034E
	s_mov_b64 s[60:61], 0                                      // 00000000FE0C: BEBC0180
	v_readlane_b32 s82, v3, 28                                 // 00000000FE10: D2890052 00013903
	s_and_b32 s82, s82, 0xffffff                               // 00000000FE18: 8652FF52 00FFFFFF
	s_cmp_lt_u32 s82, s66                                      // 00000000FE20: BF0A4252
	s_cselect_b32 s20, s36, s60                                // 00000000FE24: 85143C24
	v_readlane_b32 s82, v3, 29                                 // 00000000FE28: D2890052 00013B03
	s_and_b32 s82, s82, 0xffffff                               // 00000000FE30: 8652FF52 00FFFFFF
	s_cmp_lt_u32 s82, s66                                      // 00000000FE38: BF0A4252
	s_cselect_b32 s21, s36, s60                                // 00000000FE3C: 85153C24
	s_mov_b64 exec, s[20:21]                                   // 00000000FE40: BEFE0114
	global_atomic_add_f32 v6, v214, s[8:9] offset:8            // 00000000FE44: DD348008 0008D606
	global_atomic_add_f32 v6, v218, s[8:9] offset:264          // 00000000FE4C: DD348108 0008DA06
	s_mov_b64 exec, s[36:37]                                   // 00000000FE54: BEFE0124
	v_mov_b32_e32 v6, v79                                      // 00000000FE58: 7E0C034F
	s_mov_b64 s[60:61], 0                                      // 00000000FE5C: BEBC0180
	v_readlane_b32 s82, v3, 30                                 // 00000000FE60: D2890052 00013D03
	s_and_b32 s82, s82, 0xffffff                               // 00000000FE68: 8652FF52 00FFFFFF
	s_cmp_lt_u32 s82, s66                                      // 00000000FE70: BF0A4252
	s_cselect_b32 s20, s36, s60                                // 00000000FE74: 85143C24
	v_readlane_b32 s82, v3, 31                                 // 00000000FE78: D2890052 00013F03
	s_and_b32 s82, s82, 0xffffff                               // 00000000FE80: 8652FF52 00FFFFFF
	s_cmp_lt_u32 s82, s66                                      // 00000000FE88: BF0A4252
	s_cselect_b32 s21, s36, s60                                // 00000000FE8C: 85153C24
	s_mov_b64 exec, s[20:21]                                   // 00000000FE90: BEFE0114
	global_atomic_add_f32 v6, v215, s[8:9] offset:8            // 00000000FE94: DD348008 0008D706
	global_atomic_add_f32 v6, v219, s[8:9] offset:264          // 00000000FE9C: DD348108 0008DB06
	s_mov_b64 exec, s[36:37]                                   // 00000000FEA4: BEFE0124
	v_mov_b32_e32 v6, v80                                      // 00000000FEA8: 7E0C0350
	s_mov_b64 s[60:61], 0                                      // 00000000FEAC: BEBC0180
	v_readlane_b32 s82, v3, 32                                 // 00000000FEB0: D2890052 00014103
	s_and_b32 s82, s82, 0xffffff                               // 00000000FEB8: 8652FF52 00FFFFFF
	s_cmp_lt_u32 s82, s66                                      // 00000000FEC0: BF0A4252
	s_cselect_b32 s20, s36, s60                                // 00000000FEC4: 85143C24
	v_readlane_b32 s82, v3, 33                                 // 00000000FEC8: D2890052 00014303
	s_and_b32 s82, s82, 0xffffff                               // 00000000FED0: 8652FF52 00FFFFFF
	s_cmp_lt_u32 s82, s66                                      // 00000000FED8: BF0A4252
	s_cselect_b32 s21, s36, s60                                // 00000000FEDC: 85153C24
	s_mov_b64 exec, s[20:21]                                   // 00000000FEE0: BEFE0114
	global_atomic_add_f32 v6, v222, s[8:9] offset:8            // 00000000FEE4: DD348008 0008DE06
	global_atomic_add_f32 v6, v226, s[8:9] offset:264          // 00000000FEEC: DD348108 0008E206
	s_mov_b64 exec, s[36:37]                                   // 00000000FEF4: BEFE0124
	v_mov_b32_e32 v6, v81                                      // 00000000FEF8: 7E0C0351
	s_mov_b64 s[60:61], 0                                      // 00000000FEFC: BEBC0180
	v_readlane_b32 s82, v3, 34                                 // 00000000FF00: D2890052 00014503
	s_and_b32 s82, s82, 0xffffff                               // 00000000FF08: 8652FF52 00FFFFFF
	s_cmp_lt_u32 s82, s66                                      // 00000000FF10: BF0A4252
	s_cselect_b32 s20, s36, s60                                // 00000000FF14: 85143C24
	v_readlane_b32 s82, v3, 35                                 // 00000000FF18: D2890052 00014703
	s_and_b32 s82, s82, 0xffffff                               // 00000000FF20: 8652FF52 00FFFFFF
	s_cmp_lt_u32 s82, s66                                      // 00000000FF28: BF0A4252
	s_cselect_b32 s21, s36, s60                                // 00000000FF2C: 85153C24
	s_mov_b64 exec, s[20:21]                                   // 00000000FF30: BEFE0114
	global_atomic_add_f32 v6, v223, s[8:9] offset:8            // 00000000FF34: DD348008 0008DF06
	global_atomic_add_f32 v6, v227, s[8:9] offset:264          // 00000000FF3C: DD348108 0008E306
	s_mov_b64 exec, s[36:37]                                   // 00000000FF44: BEFE0124
	s_branch label_3556                                        // 00000000FF48: BF820000

000000000000ff4c <label_3556>:
	s_waitcnt vmcnt(0) expcnt(0) lgkmcnt(0)                    // 00000000FF4C: BF8C0000
	s_endpgm                                                   // 00000000FF50: BF810000
